;; amdgpu-corpus repo=ROCm/aiter kind=harvested arch=n/a opt=n/a

/root/src/amdgpu-assembly/repos/ROCm__aiter/hsa/gfx950/fmoe_2stages/fmoe_stage1_bf16_pertokenFp8_doweight_g1u1_96x64_pf3.co:	file format elf64-amdgpu

Disassembly of section .text:

0000000000002a00 <_ZN5aiter52fmoe_stage1_bf16_pertokenFp8_doweight_g1u1_96x64_pf3E>:
	s_and_b32 s1, s1, 0xffff                                   // 000000002A00: 8601FF01 0000FFFF
	s_load_dwordx2 s[8:9], s[0:1], 0x0                         // 000000002A08: C0060200 00000000
	s_load_dwordx2 s[20:21], s[0:1], 0x10                      // 000000002A10: C0060500 00000010
	s_load_dwordx2 s[24:25], s[0:1], 0x20                      // 000000002A18: C0060600 00000020
	s_load_dwordx2 s[48:49], s[0:1], 0x30                      // 000000002A20: C0060C00 00000030
	s_load_dwordx2 s[28:29], s[0:1], 0x40                      // 000000002A28: C0060700 00000040
	s_load_dwordx2 s[32:33], s[0:1], 0x50                      // 000000002A30: C0060800 00000050
	s_load_dwordx2 s[36:37], s[0:1], 0x60                      // 000000002A38: C0060900 00000060
	s_load_dwordx2 s[12:13], s[0:1], 0x70                      // 000000002A40: C0060300 00000070
	s_load_dwordx2 s[44:45], s[0:1], 0x80                      // 000000002A48: C0060B00 00000080
	s_mov_b32 s89, 0                                           // 000000002A50: BED90080
	s_load_dword s64, s[0:1], 0x90                             // 000000002A54: C0021000 00000090
	s_load_dword s65, s[0:1], 0xa0                             // 000000002A5C: C0021040 000000A0
	s_load_dword s66, s[0:1], 0xb0                             // 000000002A64: C0021080 000000B0
	s_load_dword s67, s[0:1], 0xc0                             // 000000002A6C: C00210C0 000000C0
	s_load_dword s68, s[0:1], 0xd0                             // 000000002A74: C0021100 000000D0
	s_load_dword s69, s[0:1], 0xe0                             // 000000002A7C: C0021140 000000E0
	s_load_dword s71, s[0:1], 0xf0                             // 000000002A84: C00211C0 000000F0
	s_load_dword s72, s[0:1], 0x100                            // 000000002A8C: C0021200 00000100
	s_load_dword s74, s[0:1], 0x110                            // 000000002A94: C0021280 00000110
	s_load_dword s76, s[0:1], 0x120                            // 000000002A9C: C0021300 00000120
	s_load_dword s56, s[0:1], 0x130                            // 000000002AA4: C0020E00 00000130
	s_load_dword s88, s[0:1], 0x140                            // 000000002AAC: C0021600 00000140
	s_load_dword s89, s[0:1], 0x150                            // 000000002AB4: C0021640 00000150
	s_load_dwordx2 s[40:41], s[0:1], 0x160                     // 000000002ABC: C0060A00 00000160
	v_lshrrev_b32_e32 v1, 10, v0                               // 000000002AC4: 2002008A
	v_lshrrev_b32_e32 v2, 10, v1                               // 000000002AC8: 2004028A
	v_and_b32_e32 v2, 0x3ff, v2                                // 000000002ACC: 260404FF 000003FF
	v_and_b32_e32 v1, 0x3ff, v1                                // 000000002AD4: 260202FF 000003FF
	v_and_b32_e32 v0, 0x3ff, v0                                // 000000002ADC: 260000FF 000003FF
	v_lshrrev_b32_e32 v3, 6, v0                                // 000000002AE4: 20060086
	v_and_b32_e32 v0, 63, v0                                   // 000000002AE8: 260000BF
	s_mov_b32 s2, s2                                           // 000000002AEC: BE820002
	s_mov_b32 s3, s3                                           // 000000002AF0: BE830003
	s_mov_b32 s4, s4                                           // 000000002AF4: BE840004
	v_readfirstlane_b32 s7, v3                                 // 000000002AF8: 7E0E0503
	s_waitcnt lgkmcnt(0)                                       // 000000002AFC: BF8CC07F
	s_and_b32 s49, s49, 0xffff                                 // 000000002B00: 8631FF31 0000FFFF
	s_load_dword s48, s[48:49], 0x0                            // 000000002B08: C0020C18 00000000
	s_and_b32 s45, s45, 0xffff                                 // 000000002B10: 862DFF2D 0000FFFF
	s_and_b32 s9, s9, 0xffff                                   // 000000002B18: 8609FF09 0000FFFF
	s_mul_i32 s60, s66, s68                                    // 000000002B20: 923C4442
	s_mul_i32 s61, s66, 4                                      // 000000002B24: 923D8442
	s_mov_b32 s22, s60                                         // 000000002B28: BE96003C
	s_mov_b32 s26, -16                                         // 000000002B2C: BE9A00D0
	s_mov_b32 s30, s61                                         // 000000002B30: BE9E003D
	s_mov_b32 s14, 0x180                                       // 000000002B34: BE8E00FF 00000180
	s_mov_b32 s38, -16                                         // 000000002B3C: BEA600D0
	s_mov_b32 s10, -16                                         // 000000002B40: BE8A00D0
	s_mov_b32 s34, 0x100                                       // 000000002B44: BEA200FF 00000100
	s_mov_b32 s23, 0x20000                                     // 000000002B4C: BE9700FF 00020000
	s_mov_b32 s27, 0x20000                                     // 000000002B54: BE9B00FF 00020000
	s_mov_b32 s31, 0x20000                                     // 000000002B5C: BE9F00FF 00020000
	s_mov_b32 s35, 0x20000                                     // 000000002B64: BEA300FF 00020000
	s_mov_b32 s15, 0x20000                                     // 000000002B6C: BE8F00FF 00020000
	s_mov_b32 s39, 0x20000                                     // 000000002B74: BEA700FF 00020000
	s_mov_b32 s11, 0x20000                                     // 000000002B7C: BE8B00FF 00020000
	s_and_b32 s21, s21, 0xffff                                 // 000000002B84: 8615FF15 0000FFFF
	s_and_b32 s25, s25, 0xffff                                 // 000000002B8C: 8619FF19 0000FFFF
	s_and_b32 s29, s29, 0xffff                                 // 000000002B94: 861DFF1D 0000FFFF
	s_and_b32 s33, s33, 0xffff                                 // 000000002B9C: 8621FF21 0000FFFF
	s_and_b32 s13, s13, 0xffff                                 // 000000002BA4: 860DFF0D 0000FFFF
	s_and_b32 s37, s37, 0xffff                                 // 000000002BAC: 8625FF25 0000FFFF
	s_or_b32 s21, s21, 0x40000                                 // 000000002BB4: 8715FF15 00040000
	s_or_b32 s25, s25, 0x40000                                 // 000000002BBC: 8719FF19 00040000
	s_or_b32 s29, s29, 0x40000                                 // 000000002BC4: 871DFF1D 00040000
	s_or_b32 s33, s33, 0x40000                                 // 000000002BCC: 8721FF21 00040000
	s_or_b32 s13, s13, 0x40000                                 // 000000002BD4: 870DFF0D 00040000
	s_or_b32 s37, s37, 0x40000                                 // 000000002BDC: 8725FF25 00040000
	s_mov_b32 s42, -16                                         // 000000002BE4: BEAA00D0
	s_mov_b32 s43, 0x20000                                     // 000000002BE8: BEAB00FF 00020000
	s_and_b32 s41, s41, 0xffff                                 // 000000002BF0: 8629FF29 0000FFFF
	s_or_b32 s41, s41, 0x40000                                 // 000000002BF8: 8729FF29 00040000
	v_accvgpr_write_b32 a119, 0                                // 000000002C00: D3D94077 18000080
	v_mov_b32_e32 v121, 0                                      // 000000002C08: 7EF20280
	s_waitcnt lgkmcnt(0)                                       // 000000002C0C: BF8CC07F
	s_mul_i32 s60, s3, 0x60                                    // 000000002C10: 923CFF03 00000060
	s_cmp_lt_i32 s60, s48                                      // 000000002C18: BF04303C
	s_cbranch_scc0 label_20C3                                  // 000000002C1C: BF842038
	s_mov_b32 s80, 0                                           // 000000002C20: BED00080
	s_lshr_b32 s81, s64, s88                                   // 000000002C24: 8F515840
	s_mul_i32 s60, s3, 4                                       // 000000002C28: 923C8403
	s_add_u32 s44, s60, s44                                    // 000000002C2C: 802C2C3C
	s_addc_u32 s45, 0, s45                                     // 000000002C30: 822D2D80
	s_load_dword s5, s[44:45], 0x0                             // 000000002C34: C0020156 00000000
	s_mul_i32 s60, s3, 0x60                                    // 000000002C3C: 923CFF03 00000060
	s_mul_i32 s60, 4, s60                                      // 000000002C44: 923C3C84
	s_add_u32 s12, s60, s12                                    // 000000002C48: 800C0C3C
	s_addc_u32 s13, 0, s13                                     // 000000002C4C: 820D0D80
	v_and_b32_e32 v4, 15, v0                                   // 000000002C50: 2608008F
	v_lshlrev_b32_e32 v4, 2, v4                                // 000000002C54: 24080882
	buffer_load_dword v30, v4, s[12:15], 0 offen               // 000000002C58: E0501000 80031E04
	v_add_u32_e32 v4, 64, v4                                   // 000000002C60: 680808C0
	buffer_load_dword v31, v4, s[12:15], 0 offen               // 000000002C64: E0501000 80031F04
	v_add_u32_e32 v4, 64, v4                                   // 000000002C6C: 680808C0
	buffer_load_dword v32, v4, s[12:15], 0 offen               // 000000002C70: E0501000 80032004
	v_add_u32_e32 v4, 64, v4                                   // 000000002C78: 680808C0
	buffer_load_dword v33, v4, s[12:15], 0 offen               // 000000002C7C: E0501000 80032104
	v_add_u32_e32 v4, 64, v4                                   // 000000002C84: 680808C0
	buffer_load_dword v34, v4, s[12:15], 0 offen               // 000000002C88: E0501000 80032204
	v_add_u32_e32 v4, 64, v4                                   // 000000002C90: 680808C0
	buffer_load_dword v35, v4, s[12:15], 0 offen               // 000000002C94: E0501000 80032304
	v_add_u32_e32 v4, 64, v4                                   // 000000002C9C: 680808C0
	s_mul_i32 s60, 4, s7                                       // 000000002CA0: 923C0784
	v_lshlrev_b32_e32 v4, 4, v0                                // 000000002CA4: 24080084
	v_add_u32_e32 v4, s60, v4                                  // 000000002CA8: 6808083C
	buffer_load_dword v3, v4, s[12:15], 0 offen                // 000000002CAC: E0501000 80030304
	v_mov_b32_e32 v68, 0                                       // 000000002CB4: 7E880280
	v_mov_b32_e32 v92, 0                                       // 000000002CB8: 7EB80280
	v_mov_b32_e32 v69, 0                                       // 000000002CBC: 7E8A0280
	v_mov_b32_e32 v93, 0                                       // 000000002CC0: 7EBA0280
	v_mov_b32_e32 v70, 0                                       // 000000002CC4: 7E8C0280
	v_mov_b32_e32 v94, 0                                       // 000000002CC8: 7EBC0280
	v_mov_b32_e32 v71, 0                                       // 000000002CCC: 7E8E0280
	v_mov_b32_e32 v95, 0                                       // 000000002CD0: 7EBE0280
	v_mov_b32_e32 v72, 0                                       // 000000002CD4: 7E900280
	v_mov_b32_e32 v96, 0                                       // 000000002CD8: 7EC00280
	v_mov_b32_e32 v73, 0                                       // 000000002CDC: 7E920280
	v_mov_b32_e32 v97, 0                                       // 000000002CE0: 7EC20280
	v_mov_b32_e32 v74, 0                                       // 000000002CE4: 7E940280
	v_mov_b32_e32 v98, 0                                       // 000000002CE8: 7EC40280
	v_mov_b32_e32 v75, 0                                       // 000000002CEC: 7E960280
	v_mov_b32_e32 v99, 0                                       // 000000002CF0: 7EC60280
	v_mov_b32_e32 v76, 0                                       // 000000002CF4: 7E980280
	v_mov_b32_e32 v100, 0                                      // 000000002CF8: 7EC80280
	v_mov_b32_e32 v77, 0                                       // 000000002CFC: 7E9A0280
	v_mov_b32_e32 v101, 0                                      // 000000002D00: 7ECA0280
	v_mov_b32_e32 v78, 0                                       // 000000002D04: 7E9C0280
	v_mov_b32_e32 v102, 0                                      // 000000002D08: 7ECC0280
	v_mov_b32_e32 v79, 0                                       // 000000002D0C: 7E9E0280
	v_mov_b32_e32 v103, 0                                      // 000000002D10: 7ECE0280
	v_mov_b32_e32 v80, 0                                       // 000000002D14: 7EA00280
	v_mov_b32_e32 v104, 0                                      // 000000002D18: 7ED00280
	v_mov_b32_e32 v81, 0                                       // 000000002D1C: 7EA20280
	v_mov_b32_e32 v105, 0                                      // 000000002D20: 7ED20280
	v_mov_b32_e32 v82, 0                                       // 000000002D24: 7EA40280
	v_mov_b32_e32 v106, 0                                      // 000000002D28: 7ED40280
	v_mov_b32_e32 v83, 0                                       // 000000002D2C: 7EA60280
	v_mov_b32_e32 v107, 0                                      // 000000002D30: 7ED60280
	v_mov_b32_e32 v84, 0                                       // 000000002D34: 7EA80280
	v_mov_b32_e32 v108, 0                                      // 000000002D38: 7ED80280
	v_mov_b32_e32 v85, 0                                       // 000000002D3C: 7EAA0280
	v_mov_b32_e32 v109, 0                                      // 000000002D40: 7EDA0280
	v_mov_b32_e32 v86, 0                                       // 000000002D44: 7EAC0280
	v_mov_b32_e32 v110, 0                                      // 000000002D48: 7EDC0280
	v_mov_b32_e32 v87, 0                                       // 000000002D4C: 7EAE0280
	v_mov_b32_e32 v111, 0                                      // 000000002D50: 7EDE0280
	v_mov_b32_e32 v88, 0                                       // 000000002D54: 7EB00280
	v_mov_b32_e32 v112, 0                                      // 000000002D58: 7EE00280
	v_mov_b32_e32 v89, 0                                       // 000000002D5C: 7EB20280
	v_mov_b32_e32 v113, 0                                      // 000000002D60: 7EE20280
	v_mov_b32_e32 v90, 0                                       // 000000002D64: 7EB40280
	v_mov_b32_e32 v114, 0                                      // 000000002D68: 7EE40280
	v_mov_b32_e32 v91, 0                                       // 000000002D6C: 7EB60280
	v_mov_b32_e32 v115, 0                                      // 000000002D70: 7EE60280
	s_mul_i32 s60, s2, 0x80                                    // 000000002D74: 923CFF02 00000080
	s_cmp_eq_u32 s88, 0                                        // 000000002D7C: BF068058
	s_cselect_b32 s61, 1, 2                                    // 000000002D80: 853D8281
	s_mul_i32 s60, s60, s61                                    // 000000002D84: 923C3D3C
	s_mov_b32 s90, s8                                          // 000000002D88: BEDA0008
	s_mov_b32 s91, s9                                          // 000000002D8C: BEDB0009
	s_add_u32 s8, s60, s8                                      // 000000002D90: 8008083C
	s_addc_u32 s9, 0, s9                                       // 000000002D94: 82090980
	v_lshrrev_b32_e32 v4, 4, v0                                // 000000002D98: 20080084
	v_mul_lo_u32 v20, 34, v4                                   // 000000002D9C: D2850014 000208A2
	v_and_b32_e32 v4, 15, v0                                   // 000000002DA4: 2608008F
	v_mul_lo_u32 v5, 2, v4                                     // 000000002DA8: D2850005 00020882
	v_add_u32_e32 v20, v5, v20                                 // 000000002DB0: 68282905
	s_mul_i32 s60, s7, 0x88                                    // 000000002DB4: 923CFF07 00000088
	v_add_u32_e32 v20, s60, v20                                // 000000002DBC: 6828283C
	v_lshlrev_b32_e32 v20, 2, v20                              // 000000002DC0: 24282882
	v_and_b32_e32 v4, 31, v0                                   // 000000002DC4: 2608009F
	v_lshrrev_b32_e32 v4, 1, v4                                // 000000002DC8: 20080881
	v_mul_lo_u32 v21, 34, v4                                   // 000000002DCC: D2850015 000208A2
	v_lshrrev_b32_e32 v4, 5, v0                                // 000000002DD4: 20080085
	v_mul_lo_u32 v4, 8, v4                                     // 000000002DD8: D2850004 00020888
	v_add_u32_e32 v21, v21, v4                                 // 000000002DE0: 682A0915
	v_and_b32_e32 v5, 1, v0                                    // 000000002DE4: 260A0081
	v_add_u32_e32 v21, v5, v21                                 // 000000002DE8: 682A2B05
	s_mul_i32 s60, s7, 2                                       // 000000002DEC: 923C8207
	v_add_u32_e32 v21, s60, v21                                // 000000002DF0: 682A2A3C
	v_lshlrev_b32_e32 v21, 2, v21                              // 000000002DF4: 242A2A82
	s_mul_i32 s60, s7, 0xc20                                   // 000000002DF8: 923CFF07 00000C20
	s_add_u32 s48, 0, s60                                      // 000000002E00: 80303C80
	s_add_u32 s49, 0x3080, s48                                 // 000000002E04: 803130FF 00003080
	s_add_u32 s50, 0x3080, s49                                 // 000000002E0C: 803231FF 00003080
	v_lshrrev_b32_e32 v4, 4, v0                                // 000000002E14: 20080084
	v_lshlrev_b32_e32 v5, 2, v4                                // 000000002E18: 240A0882
	v_and_b32_e32 v4, 15, v0                                   // 000000002E1C: 2608008F
	v_lshrrev_b32_e32 v6, 2, v4                                // 000000002E20: 200C0882
	v_lshlrev_b32_e32 v6, 5, v6                                // 000000002E24: 240C0C85
	v_add_u32_e32 v5, v6, v5                                   // 000000002E28: 680A0B06
	v_and_b32_e32 v4, 3, v0                                    // 000000002E2C: 26080083
	v_mul_u32_u24_e32 v6, 0x308, v4                            // 000000002E30: 100C08FF 00000308
	v_add_u32_e32 v5, v6, v5                                   // 000000002E38: 680A0B06
	v_lshlrev_b32_e32 v2, 2, v5                                // 000000002E3C: 24040A82
	s_waitcnt lgkmcnt(0)                                       // 000000002E40: BF8CC07F
	s_mul_i32 s60, s2, 64                                      // 000000002E44: 923CC002
	s_mul_i32 s60, s60, s69                                    // 000000002E48: 923C453C
	s_mul_i32 s61, s5, s72                                     // 000000002E4C: 923D4805
	s_add_u32 s60, s61, s60                                    // 000000002E50: 803C3C3D
	s_add_u32 s24, s60, s24                                    // 000000002E54: 8018183C
	s_addc_u32 s25, 0, s25                                     // 000000002E58: 82191980
	s_lshr_b32 s60, s64, s88                                   // 000000002E5C: 8F3C5840
	s_mul_i32 s60, s4, s60                                     // 000000002E60: 923C3C04
	s_lshr_b32 s60, s60, 7                                     // 000000002E64: 8F3C873C
	s_mul_i32 s60, s60, 0x800                                  // 000000002E68: 923CFF3C 00000800
	s_add_u32 s24, s60, s24                                    // 000000002E70: 8018183C
	s_addc_u32 s25, 0, s25                                     // 000000002E74: 82191980
	s_lshr_b32 s60, s69, s88                                   // 000000002E78: 8F3C5845
	s_mul_i32 s60, s4, s60                                     // 000000002E7C: 923C3C04
	s_add_u32 s20, s60, s20                                    // 000000002E80: 8014143C
	s_addc_u32 s21, 0, s21                                     // 000000002E84: 82151580
	s_mul_i32 s60, s7, 16                                      // 000000002E88: 923C9007
	s_mul_i32 s60, s60, s69                                    // 000000002E8C: 923C453C
	v_lshlrev_b32_e32 v66, 4, v0                               // 000000002E90: 24840084
	v_add_u32_e32 v66, s60, v66                                // 000000002E94: 6884843C
	s_mul_i32 s60, 64, s69                                     // 000000002E98: 923C45C0
	s_mov_b32 s84, s24                                         // 000000002E9C: BED40018
	s_mov_b32 s85, s25                                         // 000000002EA0: BED50019
	s_mov_b32 s86, s26                                         // 000000002EA4: BED6001A
	s_mov_b32 s87, s27                                         // 000000002EA8: BED7001B
	s_mul_i32 s60, s69, s65                                    // 000000002EAC: 923C4145
	s_add_u32 s84, s60, s84                                    // 000000002EB0: 8054543C
	s_addc_u32 s85, 0, s85                                     // 000000002EB4: 82555580
	v_lshrrev_b32_e32 v4, 4, v0                                // 000000002EB8: 20080084
	v_lshlrev_b32_e32 v5, 2, v4                                // 000000002EBC: 240A0882
	v_and_b32_e32 v4, 15, v0                                   // 000000002EC0: 2608008F
	v_lshrrev_b32_e32 v6, 2, v4                                // 000000002EC4: 200C0882
	v_lshlrev_b32_e32 v6, 6, v6                                // 000000002EC8: 240C0C86
	v_add_u32_e32 v5, v6, v5                                   // 000000002ECC: 680A0B06
	v_and_b32_e32 v4, 3, v0                                    // 000000002ED0: 26080083
	v_add_u32_e32 v5, v4, v5                                   // 000000002ED4: 680A0B04
	v_lshlrev_b32_e32 v22, 2, v5                               // 000000002ED8: 242C0A82
	s_mul_i32 s60, s7, 16                                      // 000000002EDC: 923C9007
	s_mul_i32 s60, s60, 4                                      // 000000002EE0: 923C843C
	v_add_u32_e32 v22, s60, v22                                // 000000002EE4: 682C2C3C
	s_mul_i32 s60, s2, 64                                      // 000000002EE8: 923CC002
	s_mul_i32 s60, s60, 4                                      // 000000002EEC: 923C843C
	s_mul_i32 s61, s5, s74                                     // 000000002EF0: 923D4A05
	s_add_u32 s61, s61, s60                                    // 000000002EF4: 803D3C3D
	s_add_u32 s32, s61, s32                                    // 000000002EF8: 8020203D
	s_addc_u32 s33, 0, s33                                     // 000000002EFC: 82212180
	s_mov_b32 s57, 0x80                                        // 000000002F00: BEB900FF 00000080
	s_mov_b32 s58, 0x800                                       // 000000002F08: BEBA00FF 00000800
	s_mov_b32 s83, s58                                         // 000000002F10: BED3003A
	s_mov_b32 s52, 0x7060302                                   // 000000002F14: BEB400FF 07060302
	s_mov_b32 s53, 0x400                                       // 000000002F1C: BEB500FF 00000400
	s_mov_b32 s54, 0x40100                                     // 000000002F24: BEB600FF 00040100
	s_mov_b32 s55, 0x4020100                                   // 000000002F2C: BEB700FF 04020100
	s_mov_b32 s6, 0x3fb8aa3b                                   // 000000002F34: BE8600FF 3FB8AA3B
	s_mov_b32 s78, 0xbd92220c                                  // 000000002F3C: BECE00FF BD92220C
	s_mov_b32 s79, 0xbd92220c                                  // 000000002F44: BECF00FF BD92220C
	s_mov_b32 m0, s48                                          // 000000002F4C: BEFC0030
	v_mov_b32_e32 v1, 0xbfcc4231                               // 000000002F50: 7E0202FF BFCC4231
	v_mov_b32_e32 v17, 0xffff0000                              // 000000002F58: 7E2202FF FFFF0000
	v_mov_b32_e32 v18, 0x7fff0000                              // 000000002F60: 7E2402FF 7FFF0000
	v_mov_b32_e32 v19, 0x7fff                                  // 000000002F68: 7E2602FF 00007FFF
	s_waitcnt vmcnt(0) expcnt(0) lgkmcnt(0)                    // 000000002F70: BF8C0000
	s_mul_i32 s60, s3, 0x60                                    // 000000002F74: 923CFF03 00000060
	s_mul_i32 s60, 4, s60                                      // 000000002F7C: 923C3C84
	s_add_u32 s40, s60, s40                                    // 000000002F80: 8028283C
	s_addc_u32 s41, 0, s41                                     // 000000002F84: 82292980
	v_and_b32_e32 v4, 15, v0                                   // 000000002F88: 2608008F
	v_lshlrev_b32_e32 v4, 2, v4                                // 000000002F8C: 24080882
	buffer_load_dword v116, v4, s[40:43], 0 offen              // 000000002F90: E0501000 800A7404
	buffer_load_dword v117, v4, s[40:43], 0 offen offset:64    // 000000002F98: E0501040 800A7504
	buffer_load_dword v118, v4, s[40:43], 0 offen offset:128   // 000000002FA0: E0501080 800A7604
	buffer_load_dword v119, v4, s[40:43], 0 offen offset:192   // 000000002FA8: E05010C0 800A7704
	buffer_load_dword v120, v4, s[40:43], 0 offen offset:256   // 000000002FB0: E0501100 800A7804
	buffer_load_dword v121, v4, s[40:43], 0 offen offset:320   // 000000002FB8: E0501140 800A7904
	v_lshrrev_b32_e32 v4, 5, v0                                // 000000002FC0: 20080085
	v_xor_b32_e32 v5, 1, v4                                    // 000000002FC4: 2A0A0881
	v_readlane_b32 s82, v3, 0                                  // 000000002FC8: D2890052 00010103
	s_and_b32 s82, s82, 0xffffff                               // 000000002FD0: 8652FF52 00FFFFFF
	v_mul_lo_u32 v6, v5, s82                                   // 000000002FD8: D2850006 0000A505
	v_readlane_b32 s82, v3, 1                                  // 000000002FE0: D2890052 00010303
	s_and_b32 s82, s82, 0xffffff                               // 000000002FE8: 8652FF52 00FFFFFF
	v_mul_lo_u32 v7, v4, s82                                   // 000000002FF0: D2850007 0000A504
	v_add_u32_e32 v54, v6, v7                                  // 000000002FF8: 686C0F06
	v_mul_lo_u32 v54, v54, s68                                 // 000000002FFC: D2850036 00008936
	v_readlane_b32 s82, v3, 2                                  // 000000003004: D2890052 00010503
	s_and_b32 s82, s82, 0xffffff                               // 00000000300C: 8652FF52 00FFFFFF
	v_mul_lo_u32 v6, v5, s82                                   // 000000003014: D2850006 0000A505
	v_readlane_b32 s82, v3, 3                                  // 00000000301C: D2890052 00010703
	s_and_b32 s82, s82, 0xffffff                               // 000000003024: 8652FF52 00FFFFFF
	v_mul_lo_u32 v7, v4, s82                                   // 00000000302C: D2850007 0000A504
	v_add_u32_e32 v55, v6, v7                                  // 000000003034: 686E0F06
	v_mul_lo_u32 v55, v55, s68                                 // 000000003038: D2850037 00008937
	v_readlane_b32 s82, v3, 4                                  // 000000003040: D2890052 00010903
	s_and_b32 s82, s82, 0xffffff                               // 000000003048: 8652FF52 00FFFFFF
	v_mul_lo_u32 v6, v5, s82                                   // 000000003050: D2850006 0000A505
	v_readlane_b32 s82, v3, 5                                  // 000000003058: D2890052 00010B03
	s_and_b32 s82, s82, 0xffffff                               // 000000003060: 8652FF52 00FFFFFF
	v_mul_lo_u32 v7, v4, s82                                   // 000000003068: D2850007 0000A504
	v_add_u32_e32 v56, v6, v7                                  // 000000003070: 68700F06
	v_mul_lo_u32 v56, v56, s68                                 // 000000003074: D2850038 00008938
	v_readlane_b32 s82, v3, 6                                  // 00000000307C: D2890052 00010D03
	s_and_b32 s82, s82, 0xffffff                               // 000000003084: 8652FF52 00FFFFFF
	v_mul_lo_u32 v6, v5, s82                                   // 00000000308C: D2850006 0000A505
	v_readlane_b32 s82, v3, 7                                  // 000000003094: D2890052 00010F03
	s_and_b32 s82, s82, 0xffffff                               // 00000000309C: 8652FF52 00FFFFFF
	v_mul_lo_u32 v7, v4, s82                                   // 0000000030A4: D2850007 0000A504
	v_add_u32_e32 v57, v6, v7                                  // 0000000030AC: 68720F06
	v_mul_lo_u32 v57, v57, s68                                 // 0000000030B0: D2850039 00008939
	v_readlane_b32 s82, v3, 8                                  // 0000000030B8: D2890052 00011103
	s_and_b32 s82, s82, 0xffffff                               // 0000000030C0: 8652FF52 00FFFFFF
	v_mul_lo_u32 v6, v5, s82                                   // 0000000030C8: D2850006 0000A505
	v_readlane_b32 s82, v3, 9                                  // 0000000030D0: D2890052 00011303
	s_and_b32 s82, s82, 0xffffff                               // 0000000030D8: 8652FF52 00FFFFFF
	v_mul_lo_u32 v7, v4, s82                                   // 0000000030E0: D2850007 0000A504
	v_add_u32_e32 v58, v6, v7                                  // 0000000030E8: 68740F06
	v_mul_lo_u32 v58, v58, s68                                 // 0000000030EC: D285003A 0000893A
	v_readlane_b32 s82, v3, 10                                 // 0000000030F4: D2890052 00011503
	s_and_b32 s82, s82, 0xffffff                               // 0000000030FC: 8652FF52 00FFFFFF
	v_mul_lo_u32 v6, v5, s82                                   // 000000003104: D2850006 0000A505
	v_readlane_b32 s82, v3, 11                                 // 00000000310C: D2890052 00011703
	s_and_b32 s82, s82, 0xffffff                               // 000000003114: 8652FF52 00FFFFFF
	v_mul_lo_u32 v7, v4, s82                                   // 00000000311C: D2850007 0000A504
	v_add_u32_e32 v59, v6, v7                                  // 000000003124: 68760F06
	v_mul_lo_u32 v59, v59, s68                                 // 000000003128: D285003B 0000893B
	v_readlane_b32 s82, v3, 12                                 // 000000003130: D2890052 00011903
	s_and_b32 s82, s82, 0xffffff                               // 000000003138: 8652FF52 00FFFFFF
	v_mul_lo_u32 v6, v5, s82                                   // 000000003140: D2850006 0000A505
	v_readlane_b32 s82, v3, 13                                 // 000000003148: D2890052 00011B03
	s_and_b32 s82, s82, 0xffffff                               // 000000003150: 8652FF52 00FFFFFF
	v_mul_lo_u32 v7, v4, s82                                   // 000000003158: D2850007 0000A504
	v_add_u32_e32 v60, v6, v7                                  // 000000003160: 68780F06
	v_mul_lo_u32 v60, v60, s68                                 // 000000003164: D285003C 0000893C
	v_readlane_b32 s82, v3, 14                                 // 00000000316C: D2890052 00011D03
	s_and_b32 s82, s82, 0xffffff                               // 000000003174: 8652FF52 00FFFFFF
	v_mul_lo_u32 v6, v5, s82                                   // 00000000317C: D2850006 0000A505
	v_readlane_b32 s82, v3, 15                                 // 000000003184: D2890052 00011F03
	s_and_b32 s82, s82, 0xffffff                               // 00000000318C: 8652FF52 00FFFFFF
	v_mul_lo_u32 v7, v4, s82                                   // 000000003194: D2850007 0000A504
	v_add_u32_e32 v61, v6, v7                                  // 00000000319C: 687A0F06
	v_mul_lo_u32 v61, v61, s68                                 // 0000000031A0: D285003D 0000893D
	v_readlane_b32 s82, v3, 16                                 // 0000000031A8: D2890052 00012103
	s_and_b32 s82, s82, 0xffffff                               // 0000000031B0: 8652FF52 00FFFFFF
	v_mul_lo_u32 v6, v5, s82                                   // 0000000031B8: D2850006 0000A505
	v_readlane_b32 s82, v3, 17                                 // 0000000031C0: D2890052 00012303
	s_and_b32 s82, s82, 0xffffff                               // 0000000031C8: 8652FF52 00FFFFFF
	v_mul_lo_u32 v7, v4, s82                                   // 0000000031D0: D2850007 0000A504
	v_add_u32_e32 v62, v6, v7                                  // 0000000031D8: 687C0F06
	v_mul_lo_u32 v62, v62, s68                                 // 0000000031DC: D285003E 0000893E
	v_readlane_b32 s82, v3, 18                                 // 0000000031E4: D2890052 00012503
	s_and_b32 s82, s82, 0xffffff                               // 0000000031EC: 8652FF52 00FFFFFF
	v_mul_lo_u32 v6, v5, s82                                   // 0000000031F4: D2850006 0000A505
	v_readlane_b32 s82, v3, 19                                 // 0000000031FC: D2890052 00012703
	s_and_b32 s82, s82, 0xffffff                               // 000000003204: 8652FF52 00FFFFFF
	v_mul_lo_u32 v7, v4, s82                                   // 00000000320C: D2850007 0000A504
	v_add_u32_e32 v63, v6, v7                                  // 000000003214: 687E0F06
	v_mul_lo_u32 v63, v63, s68                                 // 000000003218: D285003F 0000893F
	v_readlane_b32 s82, v3, 20                                 // 000000003220: D2890052 00012903
	s_and_b32 s82, s82, 0xffffff                               // 000000003228: 8652FF52 00FFFFFF
	v_mul_lo_u32 v6, v5, s82                                   // 000000003230: D2850006 0000A505
	v_readlane_b32 s82, v3, 21                                 // 000000003238: D2890052 00012B03
	s_and_b32 s82, s82, 0xffffff                               // 000000003240: 8652FF52 00FFFFFF
	v_mul_lo_u32 v7, v4, s82                                   // 000000003248: D2850007 0000A504
	v_add_u32_e32 v64, v6, v7                                  // 000000003250: 68800F06
	v_mul_lo_u32 v64, v64, s68                                 // 000000003254: D2850040 00008940
	v_readlane_b32 s82, v3, 22                                 // 00000000325C: D2890052 00012D03
	s_and_b32 s82, s82, 0xffffff                               // 000000003264: 8652FF52 00FFFFFF
	v_mul_lo_u32 v6, v5, s82                                   // 00000000326C: D2850006 0000A505
	v_readlane_b32 s82, v3, 23                                 // 000000003274: D2890052 00012F03
	s_and_b32 s82, s82, 0xffffff                               // 00000000327C: 8652FF52 00FFFFFF
	v_mul_lo_u32 v7, v4, s82                                   // 000000003284: D2850007 0000A504
	v_add_u32_e32 v65, v6, v7                                  // 00000000328C: 68820F06
	v_mul_lo_u32 v65, v65, s68                                 // 000000003290: D2850041 00008941
	v_and_b32_e32 v4, 31, v0                                   // 000000003298: 2608009F
	v_lshlrev_b32_e32 v4, 2, v4                                // 00000000329C: 24080882
	v_add_u32_e32 v54, v54, v4                                 // 0000000032A0: 686C0936
	v_add_u32_e32 v55, v55, v4                                 // 0000000032A4: 686E0937
	v_add_u32_e32 v56, v56, v4                                 // 0000000032A8: 68700938
	v_add_u32_e32 v57, v57, v4                                 // 0000000032AC: 68720939
	v_add_u32_e32 v58, v58, v4                                 // 0000000032B0: 6874093A
	v_add_u32_e32 v59, v59, v4                                 // 0000000032B4: 6876093B
	v_add_u32_e32 v60, v60, v4                                 // 0000000032B8: 6878093C
	v_add_u32_e32 v61, v61, v4                                 // 0000000032BC: 687A093D
	v_add_u32_e32 v62, v62, v4                                 // 0000000032C0: 687C093E
	v_add_u32_e32 v63, v63, v4                                 // 0000000032C4: 687E093F
	v_add_u32_e32 v64, v64, v4                                 // 0000000032C8: 68800940
	v_add_u32_e32 v65, v65, v4                                 // 0000000032CC: 68820941
	v_and_b32_e32 v30, 0xffffff, v30                           // 0000000032D0: 263C3CFF 00FFFFFF
	v_lshlrev_b32_e32 v30, 2, v30                              // 0000000032D8: 243C3C82
	v_and_b32_e32 v31, 0xffffff, v31                           // 0000000032DC: 263E3EFF 00FFFFFF
	v_lshlrev_b32_e32 v31, 2, v31                              // 0000000032E4: 243E3E82
	v_and_b32_e32 v32, 0xffffff, v32                           // 0000000032E8: 264040FF 00FFFFFF
	v_lshlrev_b32_e32 v32, 2, v32                              // 0000000032F0: 24404082
	v_and_b32_e32 v33, 0xffffff, v33                           // 0000000032F4: 264242FF 00FFFFFF
	v_lshlrev_b32_e32 v33, 2, v33                              // 0000000032FC: 24424282
	v_and_b32_e32 v34, 0xffffff, v34                           // 000000003300: 264444FF 00FFFFFF
	v_lshlrev_b32_e32 v34, 2, v34                              // 000000003308: 24444482
	v_and_b32_e32 v35, 0xffffff, v35                           // 00000000330C: 264646FF 00FFFFFF
	v_lshlrev_b32_e32 v35, 2, v35                              // 000000003314: 24464682
	s_lshl_b32 s3, s66, 2                                      // 000000003318: 8E038242
	buffer_load_dword v36, v30, s[28:31], 0 offen              // 00000000331C: E0501000 8007241E
	buffer_load_dword v37, v31, s[28:31], 0 offen              // 000000003324: E0501000 8007251F
	buffer_load_dword v38, v32, s[28:31], 0 offen              // 00000000332C: E0501000 80072620
	buffer_load_dword v39, v33, s[28:31], 0 offen              // 000000003334: E0501000 80072721
	buffer_load_dword v40, v34, s[28:31], 0 offen              // 00000000333C: E0501000 80072822
	buffer_load_dword v41, v35, s[28:31], 0 offen              // 000000003344: E0501000 80072923
	buffer_load_dword v24, v22, s[32:35], 0 offen              // 00000000334C: E0501000 80081816
	s_mul_i32 s60, 4, s65                                      // 000000003354: 923C4184
	s_add_u32 s32, s60, s32                                    // 000000003358: 8020203C
	s_addc_u32 s33, 0, s33                                     // 00000000335C: 82212180
	buffer_load_dword v27, v22, s[32:35], 0 offen              // 000000003360: E0501000 80081B16
	buffer_load_dword v54, s[20:23], 0 offen lds               // 000000003368: E0511000 80050036
	s_add_u32 m0, 0x100, s48                                   // 000000003370: 807C30FF 00000100
	buffer_load_dword v55, s[20:23], 0 offen lds               // 000000003378: E0511000 80050037
	s_add_u32 m0, 0x200, s48                                   // 000000003380: 807C30FF 00000200
	;; [unrolled: 2-line block ×3, first 2 shown]
	buffer_load_dword v57, s[20:23], 0 offen lds               // 000000003398: E0511000 80050039
	s_add_u32 m0, 0x400, s48                                   // 0000000033A0: 807C30FF 00000400
	buffer_load_dword v58, s[20:23], 0 offen lds               // 0000000033A8: E0511000 8005003A
	s_add_u32 m0, 0x500, s48                                   // 0000000033B0: 807C30FF 00000500
	buffer_load_dword v59, s[20:23], 0 offen lds               // 0000000033B8: E0511000 8005003B
	s_add_u32 m0, 0x600, s48                                   // 0000000033C0: 807C30FF 00000600
	buffer_load_dword v60, s[20:23], 0 offen lds               // 0000000033C8: E0511000 8005003C
	s_add_u32 m0, 0x700, s48                                   // 0000000033D0: 807C30FF 00000700
	buffer_load_dword v61, s[20:23], 0 offen lds               // 0000000033D8: E0511000 8005003D
	s_add_u32 m0, 0x800, s48                                   // 0000000033E0: 807C30FF 00000800
	buffer_load_dword v62, s[20:23], 0 offen lds               // 0000000033E8: E0511000 8005003E
	s_add_u32 m0, 0x900, s48                                   // 0000000033F0: 807C30FF 00000900
	buffer_load_dword v63, s[20:23], 0 offen lds               // 0000000033F8: E0511000 8005003F
	s_add_u32 m0, 0xa00, s48                                   // 000000003400: 807C30FF 00000A00
	buffer_load_dword v64, s[20:23], 0 offen lds               // 000000003408: E0511000 80050040
	s_add_u32 m0, 0xb00, s48                                   // 000000003410: 807C30FF 00000B00
	buffer_load_dword v65, s[20:23], 0 offen lds               // 000000003418: E0511000 80050041
	s_add_u32 m0, 0, s49                                       // 000000003420: 807C3180
	s_add_u32 s20, s57, s20                                    // 000000003424: 80141439
	s_addc_u32 s21, 0, s21                                     // 000000003428: 82151580
	buffer_load_dwordx4 a[96:99], v66, s[24:27], 0 offen       // 00000000342C: E05C1000 80866042
	buffer_load_dwordx4 a[100:103], v66, s[24:27], 0 offen offset:1024// 000000003434: E05C1400 80866442
	s_add_u32 s24, s58, s24                                    // 00000000343C: 8018183A
	s_addc_u32 s25, 0, s25                                     // 000000003440: 82191980
	buffer_load_dword v54, s[20:23], 0 offen lds               // 000000003444: E0511000 80050036
	s_add_u32 m0, 0x100, s49                                   // 00000000344C: 807C31FF 00000100
	buffer_load_dword v55, s[20:23], 0 offen lds               // 000000003454: E0511000 80050037
	s_add_u32 m0, 0x200, s49                                   // 00000000345C: 807C31FF 00000200
	buffer_load_dword v56, s[20:23], 0 offen lds               // 000000003464: E0511000 80050038
	s_add_u32 m0, 0x300, s49                                   // 00000000346C: 807C31FF 00000300
	buffer_load_dword v57, s[20:23], 0 offen lds               // 000000003474: E0511000 80050039
	s_add_u32 m0, 0x400, s49                                   // 00000000347C: 807C31FF 00000400
	buffer_load_dword v58, s[20:23], 0 offen lds               // 000000003484: E0511000 8005003A
	s_add_u32 m0, 0x500, s49                                   // 00000000348C: 807C31FF 00000500
	buffer_load_dword v59, s[20:23], 0 offen lds               // 000000003494: E0511000 8005003B
	s_add_u32 m0, 0x600, s49                                   // 00000000349C: 807C31FF 00000600
	buffer_load_dword v60, s[20:23], 0 offen lds               // 0000000034A4: E0511000 8005003C
	s_add_u32 m0, 0x700, s49                                   // 0000000034AC: 807C31FF 00000700
	buffer_load_dword v61, s[20:23], 0 offen lds               // 0000000034B4: E0511000 8005003D
	s_add_u32 m0, 0x800, s49                                   // 0000000034BC: 807C31FF 00000800
	buffer_load_dword v62, s[20:23], 0 offen lds               // 0000000034C4: E0511000 8005003E
	s_add_u32 m0, 0x900, s49                                   // 0000000034CC: 807C31FF 00000900
	buffer_load_dword v63, s[20:23], 0 offen lds               // 0000000034D4: E0511000 8005003F
	s_add_u32 m0, 0xa00, s49                                   // 0000000034DC: 807C31FF 00000A00
	buffer_load_dword v64, s[20:23], 0 offen lds               // 0000000034E4: E0511000 80050040
	s_add_u32 m0, 0xb00, s49                                   // 0000000034EC: 807C31FF 00000B00
	buffer_load_dword v65, s[20:23], 0 offen lds               // 0000000034F4: E0511000 80050041
	s_add_u32 m0, 0, s50                                       // 0000000034FC: 807C3280
	s_add_u32 s20, s57, s20                                    // 000000003500: 80141439
	s_addc_u32 s21, 0, s21                                     // 000000003504: 82151580
	buffer_load_dwordx4 a[104:107], v66, s[84:87], 0 offen     // 000000003508: E05C1000 80956842
	buffer_load_dwordx4 a[108:111], v66, s[84:87], 0 offen offset:1024// 000000003510: E05C1400 80956C42
	s_add_u32 s84, s83, s84                                    // 000000003518: 80545453
	s_addc_u32 s85, 0, s85                                     // 00000000351C: 82555580
	s_waitcnt vmcnt(16)                                        // 000000003520: BF8C4F70
	s_barrier                                                  // 000000003524: BF8A0000
	ds_read_b128 a[0:3], v2                                    // 000000003528: DBFE0000 00000002
	ds_read_b128 a[4:7], v2 offset:64                          // 000000003530: DBFE0040 04000002
	ds_read_b128 a[8:11], v2 offset:512                        // 000000003538: DBFE0200 08000002
	ds_read_b128 a[12:15], v2 offset:576                       // 000000003540: DBFE0240 0C000002
	ds_read_b128 a[16:19], v2 offset:1024                      // 000000003548: DBFE0400 10000002
	ds_read_b128 a[20:23], v2 offset:1088                      // 000000003550: DBFE0440 14000002
	ds_read_b128 a[24:27], v2 offset:1536                      // 000000003558: DBFE0600 18000002
	ds_read_b128 a[28:31], v2 offset:1600                      // 000000003560: DBFE0640 1C000002
	ds_read_b128 a[32:35], v2 offset:2048                      // 000000003568: DBFE0800 20000002
	ds_read_b128 a[36:39], v2 offset:2112                      // 000000003570: DBFE0840 24000002
	ds_read_b128 a[40:43], v2 offset:2560                      // 000000003578: DBFE0A00 28000002
	ds_read_b128 a[44:47], v2 offset:2624                      // 000000003580: DBFE0A40 2C000002
	s_cmp_lt_i32 s7, 2                                         // 000000003588: BF048207
	s_cbranch_scc0 label_11D5                                  // 00000000358C: BF840EEE

0000000000003590 <label_02E4>:
	s_waitcnt vmcnt(14) lgkmcnt(0)                             // 000000003590: BF8C007E
	v_mfma_f32_16x16x32_fp8_fp8 v[68:71], a[96:97], a[0:1], v[68:71]// 000000003594: D3F30044 1D120160
	v_mfma_f32_16x16x32_fp8_fp8 v[68:71], a[98:99], a[2:3], v[68:71]// 00000000359C: D3F30044 1D120562
	buffer_load_dwordx4 a[112:115], v66, s[24:27], 0 offen     // 0000000035A4: E05C1000 80867042
	v_mfma_f32_16x16x32_fp8_fp8 v[68:71], a[100:101], a[4:5], v[68:71]// 0000000035AC: D3F30044 1D120964
	v_mfma_f32_16x16x32_fp8_fp8 v[68:71], a[102:103], a[6:7], v[68:71]// 0000000035B4: D3F30044 1D120D66
	v_mfma_f32_16x16x32_fp8_fp8 v[72:75], a[96:97], a[8:9], v[72:75]// 0000000035BC: D3F30048 1D221160
	v_mfma_f32_16x16x32_fp8_fp8 v[72:75], a[98:99], a[10:11], v[72:75]// 0000000035C4: D3F30048 1D221562
	buffer_load_dwordx4 a[116:119], v66, s[24:27], 0 offen offset:1024// 0000000035CC: E05C1400 80867442
	buffer_load_dword v54, s[20:23], 0 offen lds               // 0000000035D4: E0511000 80050036
	s_add_u32 m0, 0x100, s50                                   // 0000000035DC: 807C32FF 00000100
	v_mfma_f32_16x16x32_fp8_fp8 v[72:75], a[100:101], a[12:13], v[72:75]// 0000000035E4: D3F30048 1D221964
	v_mfma_f32_16x16x32_fp8_fp8 v[72:75], a[102:103], a[14:15], v[72:75]// 0000000035EC: D3F30048 1D221D66
	buffer_load_dword v55, s[20:23], 0 offen lds               // 0000000035F4: E0511000 80050037
	s_add_u32 m0, 0x200, s50                                   // 0000000035FC: 807C32FF 00000200
	v_mfma_f32_16x16x32_fp8_fp8 v[76:79], a[96:97], a[16:17], v[76:79]// 000000003604: D3F3004C 1D322160
	v_mfma_f32_16x16x32_fp8_fp8 v[76:79], a[98:99], a[18:19], v[76:79]// 00000000360C: D3F3004C 1D322562
	buffer_load_dword v56, s[20:23], 0 offen lds               // 000000003614: E0511000 80050038
	s_add_u32 m0, 0x300, s50                                   // 00000000361C: 807C32FF 00000300
	v_mfma_f32_16x16x32_fp8_fp8 v[76:79], a[100:101], a[20:21], v[76:79]// 000000003624: D3F3004C 1D322964
	v_mfma_f32_16x16x32_fp8_fp8 v[76:79], a[102:103], a[22:23], v[76:79]// 00000000362C: D3F3004C 1D322D66
	buffer_load_dword v57, s[20:23], 0 offen lds               // 000000003634: E0511000 80050039
	s_add_u32 m0, 0x400, s50                                   // 00000000363C: 807C32FF 00000400
	v_mfma_f32_16x16x32_fp8_fp8 v[80:83], a[96:97], a[24:25], v[80:83]// 000000003644: D3F30050 1D423160
	v_mfma_f32_16x16x32_fp8_fp8 v[80:83], a[98:99], a[26:27], v[80:83]// 00000000364C: D3F30050 1D423562
	buffer_load_dword v58, s[20:23], 0 offen lds               // 000000003654: E0511000 8005003A
	s_add_u32 m0, 0x500, s50                                   // 00000000365C: 807C32FF 00000500
	v_mfma_f32_16x16x32_fp8_fp8 v[80:83], a[100:101], a[28:29], v[80:83]// 000000003664: D3F30050 1D423964
	v_mfma_f32_16x16x32_fp8_fp8 v[80:83], a[102:103], a[30:31], v[80:83]// 00000000366C: D3F30050 1D423D66
	buffer_load_dword v59, s[20:23], 0 offen lds               // 000000003674: E0511000 8005003B
	s_add_u32 m0, 0x600, s50                                   // 00000000367C: 807C32FF 00000600
	v_mfma_f32_16x16x32_fp8_fp8 v[84:87], a[96:97], a[32:33], v[84:87]// 000000003684: D3F30054 1D524160
	v_mfma_f32_16x16x32_fp8_fp8 v[84:87], a[98:99], a[34:35], v[84:87]// 00000000368C: D3F30054 1D524562
	buffer_load_dword v60, s[20:23], 0 offen lds               // 000000003694: E0511000 8005003C
	s_add_u32 m0, 0x700, s50                                   // 00000000369C: 807C32FF 00000700
	v_mfma_f32_16x16x32_fp8_fp8 v[84:87], a[100:101], a[36:37], v[84:87]// 0000000036A4: D3F30054 1D524964
	v_mfma_f32_16x16x32_fp8_fp8 v[84:87], a[102:103], a[38:39], v[84:87]// 0000000036AC: D3F30054 1D524D66
	buffer_load_dword v61, s[20:23], 0 offen lds               // 0000000036B4: E0511000 8005003D
	s_add_u32 m0, 0x800, s50                                   // 0000000036BC: 807C32FF 00000800
	v_mfma_f32_16x16x32_fp8_fp8 v[88:91], a[96:97], a[40:41], v[88:91]// 0000000036C4: D3F30058 1D625160
	v_mfma_f32_16x16x32_fp8_fp8 v[88:91], a[98:99], a[42:43], v[88:91]// 0000000036CC: D3F30058 1D625562
	buffer_load_dword v62, s[20:23], 0 offen lds               // 0000000036D4: E0511000 8005003E
	s_add_u32 m0, 0x900, s50                                   // 0000000036DC: 807C32FF 00000900
	v_mfma_f32_16x16x32_fp8_fp8 v[88:91], a[100:101], a[44:45], v[88:91]// 0000000036E4: D3F30058 1D625964
	v_mfma_f32_16x16x32_fp8_fp8 v[88:91], a[102:103], a[46:47], v[88:91]// 0000000036EC: D3F30058 1D625D66
	buffer_load_dword v63, s[20:23], 0 offen lds               // 0000000036F4: E0511000 8005003F
	s_add_u32 m0, 0xa00, s50                                   // 0000000036FC: 807C32FF 00000A00
	buffer_load_dword v64, s[20:23], 0 offen lds               // 000000003704: E0511000 80050040
	s_add_u32 m0, 0xb00, s50                                   // 00000000370C: 807C32FF 00000B00
	buffer_load_dword v65, s[20:23], 0 offen lds               // 000000003714: E0511000 80050041
	s_add_u32 m0, 0, s48                                       // 00000000371C: 807C3080
	s_waitcnt vmcnt(14)                                        // 000000003720: BF8C0F7E
	s_barrier                                                  // 000000003724: BF8A0000
	v_mfma_f32_16x16x32_fp8_fp8 v[92:95], a[104:105], a[0:1], v[92:95]// 000000003728: D3F3005C 1D720168
	v_mfma_f32_16x16x32_fp8_fp8 v[92:95], a[106:107], a[2:3], v[92:95]// 000000003730: D3F3005C 1D72056A
	buffer_load_dwordx4 a[96:99], v66, s[84:87], 0 offen       // 000000003738: E05C1000 80956042
	v_mfma_f32_16x16x32_fp8_fp8 v[92:95], a[108:109], a[4:5], v[92:95]// 000000003740: D3F3005C 1D72096C
	v_mfma_f32_16x16x32_fp8_fp8 v[92:95], a[110:111], a[6:7], v[92:95]// 000000003748: D3F3005C 1D720D6E
	ds_read_b128 a[48:51], v2 offset:12416                     // 000000003750: DBFE3080 30000002
	ds_read_b128 a[52:55], v2 offset:12480                     // 000000003758: DBFE30C0 34000002
	v_mfma_f32_16x16x32_fp8_fp8 v[96:99], a[104:105], a[8:9], v[96:99]// 000000003760: D3F30060 1D821168
	v_mfma_f32_16x16x32_fp8_fp8 v[96:99], a[106:107], a[10:11], v[96:99]// 000000003768: D3F30060 1D82156A
	buffer_load_dwordx4 a[100:103], v66, s[84:87], 0 offen offset:1024// 000000003770: E05C1400 80956442
	v_mfma_f32_16x16x32_fp8_fp8 v[96:99], a[108:109], a[12:13], v[96:99]// 000000003778: D3F30060 1D82196C
	v_mfma_f32_16x16x32_fp8_fp8 v[96:99], a[110:111], a[14:15], v[96:99]// 000000003780: D3F30060 1D821D6E
	ds_read_b128 a[56:59], v2 offset:12928                     // 000000003788: DBFE3280 38000002
	ds_read_b128 a[60:63], v2 offset:12992                     // 000000003790: DBFE32C0 3C000002
	v_mfma_f32_16x16x32_fp8_fp8 v[100:103], a[104:105], a[16:17], v[100:103]// 000000003798: D3F30064 1D922168
	v_mfma_f32_16x16x32_fp8_fp8 v[100:103], a[106:107], a[18:19], v[100:103]// 0000000037A0: D3F30064 1D92256A
	v_mfma_f32_16x16x32_fp8_fp8 v[100:103], a[108:109], a[20:21], v[100:103]// 0000000037A8: D3F30064 1D92296C
	v_mfma_f32_16x16x32_fp8_fp8 v[100:103], a[110:111], a[22:23], v[100:103]// 0000000037B0: D3F30064 1D922D6E
	ds_read_b128 a[64:67], v2 offset:13440                     // 0000000037B8: DBFE3480 40000002
	ds_read_b128 a[68:71], v2 offset:13504                     // 0000000037C0: DBFE34C0 44000002
	v_mfma_f32_16x16x32_fp8_fp8 v[104:107], a[104:105], a[24:25], v[104:107]// 0000000037C8: D3F30068 1DA23168
	v_mfma_f32_16x16x32_fp8_fp8 v[104:107], a[106:107], a[26:27], v[104:107]// 0000000037D0: D3F30068 1DA2356A
	v_mfma_f32_16x16x32_fp8_fp8 v[104:107], a[108:109], a[28:29], v[104:107]// 0000000037D8: D3F30068 1DA2396C
	v_mfma_f32_16x16x32_fp8_fp8 v[104:107], a[110:111], a[30:31], v[104:107]// 0000000037E0: D3F30068 1DA23D6E
	ds_read_b128 a[72:75], v2 offset:13952                     // 0000000037E8: DBFE3680 48000002
	ds_read_b128 a[76:79], v2 offset:14016                     // 0000000037F0: DBFE36C0 4C000002
	v_mfma_f32_16x16x32_fp8_fp8 v[108:111], a[104:105], a[32:33], v[108:111]// 0000000037F8: D3F3006C 1DB24168
	s_add_u32 s60, 0x180, s80                                  // 000000003800: 803C50FF 00000180
	s_cmp_lt_u32 s60, s81                                      // 000000003808: BF0A513C
	s_cselect_b32 s57, s57, 0                                  // 00000000380C: 85398039
	v_mfma_f32_16x16x32_fp8_fp8 v[108:111], a[106:107], a[34:35], v[108:111]// 000000003810: D3F3006C 1DB2456A
	s_add_u32 s60, 0x100, s80                                  // 000000003818: 803C50FF 00000100
	s_cmp_lt_u32 s60, s81                                      // 000000003820: BF0A513C
	s_cselect_b32 s58, s58, 0                                  // 000000003824: 853A803A
	v_mfma_f32_16x16x32_fp8_fp8 v[108:111], a[108:109], a[36:37], v[108:111]// 000000003828: D3F3006C 1DB2496C
	s_add_u32 s60, 0x100, s80                                  // 000000003830: 803C50FF 00000100
	s_cmp_lt_u32 s60, s81                                      // 000000003838: BF0A513C
	s_cselect_b32 s83, s83, 0                                  // 00000000383C: 85538053
	v_mfma_f32_16x16x32_fp8_fp8 v[108:111], a[110:111], a[38:39], v[108:111]// 000000003840: D3F3006C 1DB24D6E
	ds_read_b128 a[80:83], v2 offset:14464                     // 000000003848: DBFE3880 50000002
	ds_read_b128 a[84:87], v2 offset:14528                     // 000000003850: DBFE38C0 54000002
	s_add_u32 s24, s58, s24                                    // 000000003858: 8018183A
	s_addc_u32 s25, 0, s25                                     // 00000000385C: 82191980
	v_mfma_f32_16x16x32_fp8_fp8 v[112:115], a[104:105], a[40:41], v[112:115]// 000000003860: D3F30070 1DC25168
	s_add_u32 s20, s57, s20                                    // 000000003868: 80141439
	s_addc_u32 s21, 0, s21                                     // 00000000386C: 82151580
	v_mfma_f32_16x16x32_fp8_fp8 v[112:115], a[106:107], a[42:43], v[112:115]// 000000003870: D3F30070 1DC2556A
	s_add_u32 s84, s83, s84                                    // 000000003878: 80545453
	s_addc_u32 s85, 0, s85                                     // 00000000387C: 82555580
	v_mfma_f32_16x16x32_fp8_fp8 v[112:115], a[108:109], a[44:45], v[112:115]// 000000003880: D3F30070 1DC2596C
	v_mfma_f32_16x16x32_fp8_fp8 v[112:115], a[110:111], a[46:47], v[112:115]// 000000003888: D3F30070 1DC25D6E
	ds_read_b128 a[88:91], v2 offset:14976                     // 000000003890: DBFE3A80 58000002
	ds_read_b128 a[92:95], v2 offset:15040                     // 000000003898: DBFE3AC0 5C000002
	s_addk_i32 s80, 0x80                                       // 0000000038A0: B7500080
	s_cmp_lt_i32 s80, s81                                      // 0000000038A4: BF045150
	s_cbranch_scc0 label_078F                                  // 0000000038A8: BF8403E4
	s_waitcnt vmcnt(14) lgkmcnt(0)                             // 0000000038AC: BF8C007E
	v_mfma_f32_16x16x32_fp8_fp8 v[68:71], a[112:113], a[48:49], v[68:71]// 0000000038B0: D3F30044 1D126170
	v_mfma_f32_16x16x32_fp8_fp8 v[68:71], a[114:115], a[50:51], v[68:71]// 0000000038B8: D3F30044 1D126572
	buffer_load_dwordx4 a[104:107], v66, s[24:27], 0 offen     // 0000000038C0: E05C1000 80866842
	v_mfma_f32_16x16x32_fp8_fp8 v[68:71], a[116:117], a[52:53], v[68:71]// 0000000038C8: D3F30044 1D126974
	v_mfma_f32_16x16x32_fp8_fp8 v[68:71], a[118:119], a[54:55], v[68:71]// 0000000038D0: D3F30044 1D126D76
	v_mfma_f32_16x16x32_fp8_fp8 v[72:75], a[112:113], a[56:57], v[72:75]// 0000000038D8: D3F30048 1D227170
	v_mfma_f32_16x16x32_fp8_fp8 v[72:75], a[114:115], a[58:59], v[72:75]// 0000000038E0: D3F30048 1D227572
	buffer_load_dwordx4 a[108:111], v66, s[24:27], 0 offen offset:1024// 0000000038E8: E05C1400 80866C42
	buffer_load_dword v54, s[20:23], 0 offen lds               // 0000000038F0: E0511000 80050036
	s_add_u32 m0, 0x100, s48                                   // 0000000038F8: 807C30FF 00000100
	v_mfma_f32_16x16x32_fp8_fp8 v[72:75], a[116:117], a[60:61], v[72:75]// 000000003900: D3F30048 1D227974
	v_mfma_f32_16x16x32_fp8_fp8 v[72:75], a[118:119], a[62:63], v[72:75]// 000000003908: D3F30048 1D227D76
	buffer_load_dword v55, s[20:23], 0 offen lds               // 000000003910: E0511000 80050037
	s_add_u32 m0, 0x200, s48                                   // 000000003918: 807C30FF 00000200
	v_mfma_f32_16x16x32_fp8_fp8 v[76:79], a[112:113], a[64:65], v[76:79]// 000000003920: D3F3004C 1D328170
	v_mfma_f32_16x16x32_fp8_fp8 v[76:79], a[114:115], a[66:67], v[76:79]// 000000003928: D3F3004C 1D328572
	buffer_load_dword v56, s[20:23], 0 offen lds               // 000000003930: E0511000 80050038
	s_add_u32 m0, 0x300, s48                                   // 000000003938: 807C30FF 00000300
	v_mfma_f32_16x16x32_fp8_fp8 v[76:79], a[116:117], a[68:69], v[76:79]// 000000003940: D3F3004C 1D328974
	v_mfma_f32_16x16x32_fp8_fp8 v[76:79], a[118:119], a[70:71], v[76:79]// 000000003948: D3F3004C 1D328D76
	buffer_load_dword v57, s[20:23], 0 offen lds               // 000000003950: E0511000 80050039
	s_add_u32 m0, 0x400, s48                                   // 000000003958: 807C30FF 00000400
	v_mfma_f32_16x16x32_fp8_fp8 v[80:83], a[112:113], a[72:73], v[80:83]// 000000003960: D3F30050 1D429170
	v_mfma_f32_16x16x32_fp8_fp8 v[80:83], a[114:115], a[74:75], v[80:83]// 000000003968: D3F30050 1D429572
	buffer_load_dword v58, s[20:23], 0 offen lds               // 000000003970: E0511000 8005003A
	s_add_u32 m0, 0x500, s48                                   // 000000003978: 807C30FF 00000500
	v_mfma_f32_16x16x32_fp8_fp8 v[80:83], a[116:117], a[76:77], v[80:83]// 000000003980: D3F30050 1D429974
	v_mfma_f32_16x16x32_fp8_fp8 v[80:83], a[118:119], a[78:79], v[80:83]// 000000003988: D3F30050 1D429D76
	buffer_load_dword v59, s[20:23], 0 offen lds               // 000000003990: E0511000 8005003B
	s_add_u32 m0, 0x600, s48                                   // 000000003998: 807C30FF 00000600
	v_mfma_f32_16x16x32_fp8_fp8 v[84:87], a[112:113], a[80:81], v[84:87]// 0000000039A0: D3F30054 1D52A170
	v_mfma_f32_16x16x32_fp8_fp8 v[84:87], a[114:115], a[82:83], v[84:87]// 0000000039A8: D3F30054 1D52A572
	buffer_load_dword v60, s[20:23], 0 offen lds               // 0000000039B0: E0511000 8005003C
	s_add_u32 m0, 0x700, s48                                   // 0000000039B8: 807C30FF 00000700
	v_mfma_f32_16x16x32_fp8_fp8 v[84:87], a[116:117], a[84:85], v[84:87]// 0000000039C0: D3F30054 1D52A974
	v_mfma_f32_16x16x32_fp8_fp8 v[84:87], a[118:119], a[86:87], v[84:87]// 0000000039C8: D3F30054 1D52AD76
	buffer_load_dword v61, s[20:23], 0 offen lds               // 0000000039D0: E0511000 8005003D
	s_add_u32 m0, 0x800, s48                                   // 0000000039D8: 807C30FF 00000800
	v_mfma_f32_16x16x32_fp8_fp8 v[88:91], a[112:113], a[88:89], v[88:91]// 0000000039E0: D3F30058 1D62B170
	v_mfma_f32_16x16x32_fp8_fp8 v[88:91], a[114:115], a[90:91], v[88:91]// 0000000039E8: D3F30058 1D62B572
	buffer_load_dword v62, s[20:23], 0 offen lds               // 0000000039F0: E0511000 8005003E
	s_add_u32 m0, 0x900, s48                                   // 0000000039F8: 807C30FF 00000900
	v_mfma_f32_16x16x32_fp8_fp8 v[88:91], a[116:117], a[92:93], v[88:91]// 000000003A00: D3F30058 1D62B974
	v_mfma_f32_16x16x32_fp8_fp8 v[88:91], a[118:119], a[94:95], v[88:91]// 000000003A08: D3F30058 1D62BD76
	buffer_load_dword v63, s[20:23], 0 offen lds               // 000000003A10: E0511000 8005003F
	s_add_u32 m0, 0xa00, s48                                   // 000000003A18: 807C30FF 00000A00
	buffer_load_dword v64, s[20:23], 0 offen lds               // 000000003A20: E0511000 80050040
	s_add_u32 m0, 0xb00, s48                                   // 000000003A28: 807C30FF 00000B00
	buffer_load_dword v65, s[20:23], 0 offen lds               // 000000003A30: E0511000 80050041
	s_add_u32 m0, 0, s49                                       // 000000003A38: 807C3180
	s_waitcnt vmcnt(14)                                        // 000000003A3C: BF8C0F7E
	s_barrier                                                  // 000000003A40: BF8A0000
	v_mfma_f32_16x16x32_fp8_fp8 v[92:95], a[96:97], a[48:49], v[92:95]// 000000003A44: D3F3005C 1D726160
	v_mfma_f32_16x16x32_fp8_fp8 v[92:95], a[98:99], a[50:51], v[92:95]// 000000003A4C: D3F3005C 1D726562
	buffer_load_dwordx4 a[112:115], v66, s[84:87], 0 offen     // 000000003A54: E05C1000 80957042
	v_mfma_f32_16x16x32_fp8_fp8 v[92:95], a[100:101], a[52:53], v[92:95]// 000000003A5C: D3F3005C 1D726964
	v_mfma_f32_16x16x32_fp8_fp8 v[92:95], a[102:103], a[54:55], v[92:95]// 000000003A64: D3F3005C 1D726D66
	ds_read_b128 a[0:3], v2 offset:24832                       // 000000003A6C: DBFE6100 00000002
	ds_read_b128 a[4:7], v2 offset:24896                       // 000000003A74: DBFE6140 04000002
	v_mfma_f32_16x16x32_fp8_fp8 v[96:99], a[96:97], a[56:57], v[96:99]// 000000003A7C: D3F30060 1D827160
	v_mfma_f32_16x16x32_fp8_fp8 v[96:99], a[98:99], a[58:59], v[96:99]// 000000003A84: D3F30060 1D827562
	buffer_load_dwordx4 a[116:119], v66, s[84:87], 0 offen offset:1024// 000000003A8C: E05C1400 80957442
	v_mfma_f32_16x16x32_fp8_fp8 v[96:99], a[100:101], a[60:61], v[96:99]// 000000003A94: D3F30060 1D827964
	v_mfma_f32_16x16x32_fp8_fp8 v[96:99], a[102:103], a[62:63], v[96:99]// 000000003A9C: D3F30060 1D827D66
	ds_read_b128 a[8:11], v2 offset:25344                      // 000000003AA4: DBFE6300 08000002
	ds_read_b128 a[12:15], v2 offset:25408                     // 000000003AAC: DBFE6340 0C000002
	v_mfma_f32_16x16x32_fp8_fp8 v[100:103], a[96:97], a[64:65], v[100:103]// 000000003AB4: D3F30064 1D928160
	v_mfma_f32_16x16x32_fp8_fp8 v[100:103], a[98:99], a[66:67], v[100:103]// 000000003ABC: D3F30064 1D928562
	v_mfma_f32_16x16x32_fp8_fp8 v[100:103], a[100:101], a[68:69], v[100:103]// 000000003AC4: D3F30064 1D928964
	v_mfma_f32_16x16x32_fp8_fp8 v[100:103], a[102:103], a[70:71], v[100:103]// 000000003ACC: D3F30064 1D928D66
	ds_read_b128 a[16:19], v2 offset:25856                     // 000000003AD4: DBFE6500 10000002
	ds_read_b128 a[20:23], v2 offset:25920                     // 000000003ADC: DBFE6540 14000002
	v_mfma_f32_16x16x32_fp8_fp8 v[104:107], a[96:97], a[72:73], v[104:107]// 000000003AE4: D3F30068 1DA29160
	v_mfma_f32_16x16x32_fp8_fp8 v[104:107], a[98:99], a[74:75], v[104:107]// 000000003AEC: D3F30068 1DA29562
	v_mfma_f32_16x16x32_fp8_fp8 v[104:107], a[100:101], a[76:77], v[104:107]// 000000003AF4: D3F30068 1DA29964
	v_mfma_f32_16x16x32_fp8_fp8 v[104:107], a[102:103], a[78:79], v[104:107]// 000000003AFC: D3F30068 1DA29D66
	ds_read_b128 a[24:27], v2 offset:26368                     // 000000003B04: DBFE6700 18000002
	ds_read_b128 a[28:31], v2 offset:26432                     // 000000003B0C: DBFE6740 1C000002
	v_mfma_f32_16x16x32_fp8_fp8 v[108:111], a[96:97], a[80:81], v[108:111]// 000000003B14: D3F3006C 1DB2A160
	s_add_u32 s60, 0x180, s80                                  // 000000003B1C: 803C50FF 00000180
	s_cmp_lt_u32 s60, s81                                      // 000000003B24: BF0A513C
	s_cselect_b32 s57, s57, 0                                  // 000000003B28: 85398039
	v_mfma_f32_16x16x32_fp8_fp8 v[108:111], a[98:99], a[82:83], v[108:111]// 000000003B2C: D3F3006C 1DB2A562
	s_add_u32 s60, 0x100, s80                                  // 000000003B34: 803C50FF 00000100
	s_cmp_lt_u32 s60, s81                                      // 000000003B3C: BF0A513C
	s_cselect_b32 s58, s58, 0                                  // 000000003B40: 853A803A
	v_mfma_f32_16x16x32_fp8_fp8 v[108:111], a[100:101], a[84:85], v[108:111]// 000000003B44: D3F3006C 1DB2A964
	s_add_u32 s60, 0x100, s80                                  // 000000003B4C: 803C50FF 00000100
	s_cmp_lt_u32 s60, s81                                      // 000000003B54: BF0A513C
	s_cselect_b32 s83, s83, 0                                  // 000000003B58: 85538053
	v_mfma_f32_16x16x32_fp8_fp8 v[108:111], a[102:103], a[86:87], v[108:111]// 000000003B5C: D3F3006C 1DB2AD66
	ds_read_b128 a[32:35], v2 offset:26880                     // 000000003B64: DBFE6900 20000002
	ds_read_b128 a[36:39], v2 offset:26944                     // 000000003B6C: DBFE6940 24000002
	s_add_u32 s24, s58, s24                                    // 000000003B74: 8018183A
	s_addc_u32 s25, 0, s25                                     // 000000003B78: 82191980
	v_mfma_f32_16x16x32_fp8_fp8 v[112:115], a[96:97], a[88:89], v[112:115]// 000000003B7C: D3F30070 1DC2B160
	s_add_u32 s20, s57, s20                                    // 000000003B84: 80141439
	s_addc_u32 s21, 0, s21                                     // 000000003B88: 82151580
	v_mfma_f32_16x16x32_fp8_fp8 v[112:115], a[98:99], a[90:91], v[112:115]// 000000003B8C: D3F30070 1DC2B562
	s_add_u32 s84, s83, s84                                    // 000000003B94: 80545453
	s_addc_u32 s85, 0, s85                                     // 000000003B98: 82555580
	v_mfma_f32_16x16x32_fp8_fp8 v[112:115], a[100:101], a[92:93], v[112:115]// 000000003B9C: D3F30070 1DC2B964
	v_mfma_f32_16x16x32_fp8_fp8 v[112:115], a[102:103], a[94:95], v[112:115]// 000000003BA4: D3F30070 1DC2BD66
	ds_read_b128 a[40:43], v2 offset:27392                     // 000000003BAC: DBFE6B00 28000002
	ds_read_b128 a[44:47], v2 offset:27456                     // 000000003BB4: DBFE6B40 2C000002
	s_addk_i32 s80, 0x80                                       // 000000003BBC: B7500080
	s_cmp_lt_i32 s80, s81                                      // 000000003BC0: BF045150
	s_cbranch_scc0 label_078F                                  // 000000003BC4: BF84031D
	s_waitcnt vmcnt(14) lgkmcnt(0)                             // 000000003BC8: BF8C007E
	v_mfma_f32_16x16x32_fp8_fp8 v[68:71], a[104:105], a[0:1], v[68:71]// 000000003BCC: D3F30044 1D120168
	v_mfma_f32_16x16x32_fp8_fp8 v[68:71], a[106:107], a[2:3], v[68:71]// 000000003BD4: D3F30044 1D12056A
	buffer_load_dwordx4 a[96:99], v66, s[24:27], 0 offen       // 000000003BDC: E05C1000 80866042
	v_mfma_f32_16x16x32_fp8_fp8 v[68:71], a[108:109], a[4:5], v[68:71]// 000000003BE4: D3F30044 1D12096C
	v_mfma_f32_16x16x32_fp8_fp8 v[68:71], a[110:111], a[6:7], v[68:71]// 000000003BEC: D3F30044 1D120D6E
	v_mfma_f32_16x16x32_fp8_fp8 v[72:75], a[104:105], a[8:9], v[72:75]// 000000003BF4: D3F30048 1D221168
	v_mfma_f32_16x16x32_fp8_fp8 v[72:75], a[106:107], a[10:11], v[72:75]// 000000003BFC: D3F30048 1D22156A
	buffer_load_dwordx4 a[100:103], v66, s[24:27], 0 offen offset:1024// 000000003C04: E05C1400 80866442
	buffer_load_dword v54, s[20:23], 0 offen lds               // 000000003C0C: E0511000 80050036
	s_add_u32 m0, 0x100, s49                                   // 000000003C14: 807C31FF 00000100
	v_mfma_f32_16x16x32_fp8_fp8 v[72:75], a[108:109], a[12:13], v[72:75]// 000000003C1C: D3F30048 1D22196C
	v_mfma_f32_16x16x32_fp8_fp8 v[72:75], a[110:111], a[14:15], v[72:75]// 000000003C24: D3F30048 1D221D6E
	buffer_load_dword v55, s[20:23], 0 offen lds               // 000000003C2C: E0511000 80050037
	s_add_u32 m0, 0x200, s49                                   // 000000003C34: 807C31FF 00000200
	v_mfma_f32_16x16x32_fp8_fp8 v[76:79], a[104:105], a[16:17], v[76:79]// 000000003C3C: D3F3004C 1D322168
	v_mfma_f32_16x16x32_fp8_fp8 v[76:79], a[106:107], a[18:19], v[76:79]// 000000003C44: D3F3004C 1D32256A
	buffer_load_dword v56, s[20:23], 0 offen lds               // 000000003C4C: E0511000 80050038
	s_add_u32 m0, 0x300, s49                                   // 000000003C54: 807C31FF 00000300
	v_mfma_f32_16x16x32_fp8_fp8 v[76:79], a[108:109], a[20:21], v[76:79]// 000000003C5C: D3F3004C 1D32296C
	v_mfma_f32_16x16x32_fp8_fp8 v[76:79], a[110:111], a[22:23], v[76:79]// 000000003C64: D3F3004C 1D322D6E
	buffer_load_dword v57, s[20:23], 0 offen lds               // 000000003C6C: E0511000 80050039
	s_add_u32 m0, 0x400, s49                                   // 000000003C74: 807C31FF 00000400
	v_mfma_f32_16x16x32_fp8_fp8 v[80:83], a[104:105], a[24:25], v[80:83]// 000000003C7C: D3F30050 1D423168
	v_mfma_f32_16x16x32_fp8_fp8 v[80:83], a[106:107], a[26:27], v[80:83]// 000000003C84: D3F30050 1D42356A
	buffer_load_dword v58, s[20:23], 0 offen lds               // 000000003C8C: E0511000 8005003A
	s_add_u32 m0, 0x500, s49                                   // 000000003C94: 807C31FF 00000500
	v_mfma_f32_16x16x32_fp8_fp8 v[80:83], a[108:109], a[28:29], v[80:83]// 000000003C9C: D3F30050 1D42396C
	v_mfma_f32_16x16x32_fp8_fp8 v[80:83], a[110:111], a[30:31], v[80:83]// 000000003CA4: D3F30050 1D423D6E
	buffer_load_dword v59, s[20:23], 0 offen lds               // 000000003CAC: E0511000 8005003B
	s_add_u32 m0, 0x600, s49                                   // 000000003CB4: 807C31FF 00000600
	v_mfma_f32_16x16x32_fp8_fp8 v[84:87], a[104:105], a[32:33], v[84:87]// 000000003CBC: D3F30054 1D524168
	v_mfma_f32_16x16x32_fp8_fp8 v[84:87], a[106:107], a[34:35], v[84:87]// 000000003CC4: D3F30054 1D52456A
	buffer_load_dword v60, s[20:23], 0 offen lds               // 000000003CCC: E0511000 8005003C
	s_add_u32 m0, 0x700, s49                                   // 000000003CD4: 807C31FF 00000700
	v_mfma_f32_16x16x32_fp8_fp8 v[84:87], a[108:109], a[36:37], v[84:87]// 000000003CDC: D3F30054 1D52496C
	v_mfma_f32_16x16x32_fp8_fp8 v[84:87], a[110:111], a[38:39], v[84:87]// 000000003CE4: D3F30054 1D524D6E
	buffer_load_dword v61, s[20:23], 0 offen lds               // 000000003CEC: E0511000 8005003D
	s_add_u32 m0, 0x800, s49                                   // 000000003CF4: 807C31FF 00000800
	v_mfma_f32_16x16x32_fp8_fp8 v[88:91], a[104:105], a[40:41], v[88:91]// 000000003CFC: D3F30058 1D625168
	v_mfma_f32_16x16x32_fp8_fp8 v[88:91], a[106:107], a[42:43], v[88:91]// 000000003D04: D3F30058 1D62556A
	buffer_load_dword v62, s[20:23], 0 offen lds               // 000000003D0C: E0511000 8005003E
	s_add_u32 m0, 0x900, s49                                   // 000000003D14: 807C31FF 00000900
	v_mfma_f32_16x16x32_fp8_fp8 v[88:91], a[108:109], a[44:45], v[88:91]// 000000003D1C: D3F30058 1D62596C
	v_mfma_f32_16x16x32_fp8_fp8 v[88:91], a[110:111], a[46:47], v[88:91]// 000000003D24: D3F30058 1D625D6E
	buffer_load_dword v63, s[20:23], 0 offen lds               // 000000003D2C: E0511000 8005003F
	s_add_u32 m0, 0xa00, s49                                   // 000000003D34: 807C31FF 00000A00
	buffer_load_dword v64, s[20:23], 0 offen lds               // 000000003D3C: E0511000 80050040
	s_add_u32 m0, 0xb00, s49                                   // 000000003D44: 807C31FF 00000B00
	buffer_load_dword v65, s[20:23], 0 offen lds               // 000000003D4C: E0511000 80050041
	s_add_u32 m0, 0, s50                                       // 000000003D54: 807C3280
	s_waitcnt vmcnt(14)                                        // 000000003D58: BF8C0F7E
	s_barrier                                                  // 000000003D5C: BF8A0000
	v_mfma_f32_16x16x32_fp8_fp8 v[92:95], a[112:113], a[0:1], v[92:95]// 000000003D60: D3F3005C 1D720170
	v_mfma_f32_16x16x32_fp8_fp8 v[92:95], a[114:115], a[2:3], v[92:95]// 000000003D68: D3F3005C 1D720572
	buffer_load_dwordx4 a[104:107], v66, s[84:87], 0 offen     // 000000003D70: E05C1000 80956842
	v_mfma_f32_16x16x32_fp8_fp8 v[92:95], a[116:117], a[4:5], v[92:95]// 000000003D78: D3F3005C 1D720974
	v_mfma_f32_16x16x32_fp8_fp8 v[92:95], a[118:119], a[6:7], v[92:95]// 000000003D80: D3F3005C 1D720D76
	ds_read_b128 a[48:51], v2                                  // 000000003D88: DBFE0000 30000002
	ds_read_b128 a[52:55], v2 offset:64                        // 000000003D90: DBFE0040 34000002
	v_mfma_f32_16x16x32_fp8_fp8 v[96:99], a[112:113], a[8:9], v[96:99]// 000000003D98: D3F30060 1D821170
	v_mfma_f32_16x16x32_fp8_fp8 v[96:99], a[114:115], a[10:11], v[96:99]// 000000003DA0: D3F30060 1D821572
	buffer_load_dwordx4 a[108:111], v66, s[84:87], 0 offen offset:1024// 000000003DA8: E05C1400 80956C42
	v_mfma_f32_16x16x32_fp8_fp8 v[96:99], a[116:117], a[12:13], v[96:99]// 000000003DB0: D3F30060 1D821974
	v_mfma_f32_16x16x32_fp8_fp8 v[96:99], a[118:119], a[14:15], v[96:99]// 000000003DB8: D3F30060 1D821D76
	ds_read_b128 a[56:59], v2 offset:512                       // 000000003DC0: DBFE0200 38000002
	ds_read_b128 a[60:63], v2 offset:576                       // 000000003DC8: DBFE0240 3C000002
	v_mfma_f32_16x16x32_fp8_fp8 v[100:103], a[112:113], a[16:17], v[100:103]// 000000003DD0: D3F30064 1D922170
	v_mfma_f32_16x16x32_fp8_fp8 v[100:103], a[114:115], a[18:19], v[100:103]// 000000003DD8: D3F30064 1D922572
	v_mfma_f32_16x16x32_fp8_fp8 v[100:103], a[116:117], a[20:21], v[100:103]// 000000003DE0: D3F30064 1D922974
	v_mfma_f32_16x16x32_fp8_fp8 v[100:103], a[118:119], a[22:23], v[100:103]// 000000003DE8: D3F30064 1D922D76
	ds_read_b128 a[64:67], v2 offset:1024                      // 000000003DF0: DBFE0400 40000002
	ds_read_b128 a[68:71], v2 offset:1088                      // 000000003DF8: DBFE0440 44000002
	v_mfma_f32_16x16x32_fp8_fp8 v[104:107], a[112:113], a[24:25], v[104:107]// 000000003E00: D3F30068 1DA23170
	v_mfma_f32_16x16x32_fp8_fp8 v[104:107], a[114:115], a[26:27], v[104:107]// 000000003E08: D3F30068 1DA23572
	v_mfma_f32_16x16x32_fp8_fp8 v[104:107], a[116:117], a[28:29], v[104:107]// 000000003E10: D3F30068 1DA23974
	v_mfma_f32_16x16x32_fp8_fp8 v[104:107], a[118:119], a[30:31], v[104:107]// 000000003E18: D3F30068 1DA23D76
	ds_read_b128 a[72:75], v2 offset:1536                      // 000000003E20: DBFE0600 48000002
	ds_read_b128 a[76:79], v2 offset:1600                      // 000000003E28: DBFE0640 4C000002
	v_mfma_f32_16x16x32_fp8_fp8 v[108:111], a[112:113], a[32:33], v[108:111]// 000000003E30: D3F3006C 1DB24170
	s_add_u32 s60, 0x180, s80                                  // 000000003E38: 803C50FF 00000180
	s_cmp_lt_u32 s60, s81                                      // 000000003E40: BF0A513C
	s_cselect_b32 s57, s57, 0                                  // 000000003E44: 85398039
	v_mfma_f32_16x16x32_fp8_fp8 v[108:111], a[114:115], a[34:35], v[108:111]// 000000003E48: D3F3006C 1DB24572
	s_add_u32 s60, 0x100, s80                                  // 000000003E50: 803C50FF 00000100
	s_cmp_lt_u32 s60, s81                                      // 000000003E58: BF0A513C
	s_cselect_b32 s58, s58, 0                                  // 000000003E5C: 853A803A
	v_mfma_f32_16x16x32_fp8_fp8 v[108:111], a[116:117], a[36:37], v[108:111]// 000000003E60: D3F3006C 1DB24974
	s_add_u32 s60, 0x100, s80                                  // 000000003E68: 803C50FF 00000100
	s_cmp_lt_u32 s60, s81                                      // 000000003E70: BF0A513C
	s_cselect_b32 s83, s83, 0                                  // 000000003E74: 85538053
	v_mfma_f32_16x16x32_fp8_fp8 v[108:111], a[118:119], a[38:39], v[108:111]// 000000003E78: D3F3006C 1DB24D76
	ds_read_b128 a[80:83], v2 offset:2048                      // 000000003E80: DBFE0800 50000002
	ds_read_b128 a[84:87], v2 offset:2112                      // 000000003E88: DBFE0840 54000002
	s_add_u32 s24, s58, s24                                    // 000000003E90: 8018183A
	s_addc_u32 s25, 0, s25                                     // 000000003E94: 82191980
	v_mfma_f32_16x16x32_fp8_fp8 v[112:115], a[112:113], a[40:41], v[112:115]// 000000003E98: D3F30070 1DC25170
	s_add_u32 s20, s57, s20                                    // 000000003EA0: 80141439
	s_addc_u32 s21, 0, s21                                     // 000000003EA4: 82151580
	v_mfma_f32_16x16x32_fp8_fp8 v[112:115], a[114:115], a[42:43], v[112:115]// 000000003EA8: D3F30070 1DC25572
	s_add_u32 s84, s83, s84                                    // 000000003EB0: 80545453
	s_addc_u32 s85, 0, s85                                     // 000000003EB4: 82555580
	v_mfma_f32_16x16x32_fp8_fp8 v[112:115], a[116:117], a[44:45], v[112:115]// 000000003EB8: D3F30070 1DC25974
	v_mfma_f32_16x16x32_fp8_fp8 v[112:115], a[118:119], a[46:47], v[112:115]// 000000003EC0: D3F30070 1DC25D76
	ds_read_b128 a[88:91], v2 offset:2560                      // 000000003EC8: DBFE0A00 58000002
	ds_read_b128 a[92:95], v2 offset:2624                      // 000000003ED0: DBFE0A40 5C000002
	s_addk_i32 s80, 0x80                                       // 000000003ED8: B7500080
	s_cmp_lt_i32 s80, s81                                      // 000000003EDC: BF045150
	s_cbranch_scc0 label_078F                                  // 000000003EE0: BF840256
	s_waitcnt vmcnt(14) lgkmcnt(0)                             // 000000003EE4: BF8C007E
	v_mfma_f32_16x16x32_fp8_fp8 v[68:71], a[96:97], a[48:49], v[68:71]// 000000003EE8: D3F30044 1D126160
	v_mfma_f32_16x16x32_fp8_fp8 v[68:71], a[98:99], a[50:51], v[68:71]// 000000003EF0: D3F30044 1D126562
	buffer_load_dwordx4 a[112:115], v66, s[24:27], 0 offen     // 000000003EF8: E05C1000 80867042
	v_mfma_f32_16x16x32_fp8_fp8 v[68:71], a[100:101], a[52:53], v[68:71]// 000000003F00: D3F30044 1D126964
	v_mfma_f32_16x16x32_fp8_fp8 v[68:71], a[102:103], a[54:55], v[68:71]// 000000003F08: D3F30044 1D126D66
	v_mfma_f32_16x16x32_fp8_fp8 v[72:75], a[96:97], a[56:57], v[72:75]// 000000003F10: D3F30048 1D227160
	v_mfma_f32_16x16x32_fp8_fp8 v[72:75], a[98:99], a[58:59], v[72:75]// 000000003F18: D3F30048 1D227562
	buffer_load_dwordx4 a[116:119], v66, s[24:27], 0 offen offset:1024// 000000003F20: E05C1400 80867442
	buffer_load_dword v54, s[20:23], 0 offen lds               // 000000003F28: E0511000 80050036
	s_add_u32 m0, 0x100, s50                                   // 000000003F30: 807C32FF 00000100
	v_mfma_f32_16x16x32_fp8_fp8 v[72:75], a[100:101], a[60:61], v[72:75]// 000000003F38: D3F30048 1D227964
	v_mfma_f32_16x16x32_fp8_fp8 v[72:75], a[102:103], a[62:63], v[72:75]// 000000003F40: D3F30048 1D227D66
	buffer_load_dword v55, s[20:23], 0 offen lds               // 000000003F48: E0511000 80050037
	s_add_u32 m0, 0x200, s50                                   // 000000003F50: 807C32FF 00000200
	v_mfma_f32_16x16x32_fp8_fp8 v[76:79], a[96:97], a[64:65], v[76:79]// 000000003F58: D3F3004C 1D328160
	v_mfma_f32_16x16x32_fp8_fp8 v[76:79], a[98:99], a[66:67], v[76:79]// 000000003F60: D3F3004C 1D328562
	buffer_load_dword v56, s[20:23], 0 offen lds               // 000000003F68: E0511000 80050038
	s_add_u32 m0, 0x300, s50                                   // 000000003F70: 807C32FF 00000300
	v_mfma_f32_16x16x32_fp8_fp8 v[76:79], a[100:101], a[68:69], v[76:79]// 000000003F78: D3F3004C 1D328964
	v_mfma_f32_16x16x32_fp8_fp8 v[76:79], a[102:103], a[70:71], v[76:79]// 000000003F80: D3F3004C 1D328D66
	buffer_load_dword v57, s[20:23], 0 offen lds               // 000000003F88: E0511000 80050039
	s_add_u32 m0, 0x400, s50                                   // 000000003F90: 807C32FF 00000400
	v_mfma_f32_16x16x32_fp8_fp8 v[80:83], a[96:97], a[72:73], v[80:83]// 000000003F98: D3F30050 1D429160
	v_mfma_f32_16x16x32_fp8_fp8 v[80:83], a[98:99], a[74:75], v[80:83]// 000000003FA0: D3F30050 1D429562
	buffer_load_dword v58, s[20:23], 0 offen lds               // 000000003FA8: E0511000 8005003A
	s_add_u32 m0, 0x500, s50                                   // 000000003FB0: 807C32FF 00000500
	v_mfma_f32_16x16x32_fp8_fp8 v[80:83], a[100:101], a[76:77], v[80:83]// 000000003FB8: D3F30050 1D429964
	v_mfma_f32_16x16x32_fp8_fp8 v[80:83], a[102:103], a[78:79], v[80:83]// 000000003FC0: D3F30050 1D429D66
	buffer_load_dword v59, s[20:23], 0 offen lds               // 000000003FC8: E0511000 8005003B
	s_add_u32 m0, 0x600, s50                                   // 000000003FD0: 807C32FF 00000600
	v_mfma_f32_16x16x32_fp8_fp8 v[84:87], a[96:97], a[80:81], v[84:87]// 000000003FD8: D3F30054 1D52A160
	v_mfma_f32_16x16x32_fp8_fp8 v[84:87], a[98:99], a[82:83], v[84:87]// 000000003FE0: D3F30054 1D52A562
	buffer_load_dword v60, s[20:23], 0 offen lds               // 000000003FE8: E0511000 8005003C
	s_add_u32 m0, 0x700, s50                                   // 000000003FF0: 807C32FF 00000700
	v_mfma_f32_16x16x32_fp8_fp8 v[84:87], a[100:101], a[84:85], v[84:87]// 000000003FF8: D3F30054 1D52A964
	v_mfma_f32_16x16x32_fp8_fp8 v[84:87], a[102:103], a[86:87], v[84:87]// 000000004000: D3F30054 1D52AD66
	buffer_load_dword v61, s[20:23], 0 offen lds               // 000000004008: E0511000 8005003D
	s_add_u32 m0, 0x800, s50                                   // 000000004010: 807C32FF 00000800
	v_mfma_f32_16x16x32_fp8_fp8 v[88:91], a[96:97], a[88:89], v[88:91]// 000000004018: D3F30058 1D62B160
	v_mfma_f32_16x16x32_fp8_fp8 v[88:91], a[98:99], a[90:91], v[88:91]// 000000004020: D3F30058 1D62B562
	buffer_load_dword v62, s[20:23], 0 offen lds               // 000000004028: E0511000 8005003E
	s_add_u32 m0, 0x900, s50                                   // 000000004030: 807C32FF 00000900
	v_mfma_f32_16x16x32_fp8_fp8 v[88:91], a[100:101], a[92:93], v[88:91]// 000000004038: D3F30058 1D62B964
	v_mfma_f32_16x16x32_fp8_fp8 v[88:91], a[102:103], a[94:95], v[88:91]// 000000004040: D3F30058 1D62BD66
	buffer_load_dword v63, s[20:23], 0 offen lds               // 000000004048: E0511000 8005003F
	s_add_u32 m0, 0xa00, s50                                   // 000000004050: 807C32FF 00000A00
	buffer_load_dword v64, s[20:23], 0 offen lds               // 000000004058: E0511000 80050040
	s_add_u32 m0, 0xb00, s50                                   // 000000004060: 807C32FF 00000B00
	buffer_load_dword v65, s[20:23], 0 offen lds               // 000000004068: E0511000 80050041
	s_add_u32 m0, 0, s48                                       // 000000004070: 807C3080
	s_waitcnt vmcnt(14)                                        // 000000004074: BF8C0F7E
	s_barrier                                                  // 000000004078: BF8A0000
	v_mfma_f32_16x16x32_fp8_fp8 v[92:95], a[104:105], a[48:49], v[92:95]// 00000000407C: D3F3005C 1D726168
	v_mfma_f32_16x16x32_fp8_fp8 v[92:95], a[106:107], a[50:51], v[92:95]// 000000004084: D3F3005C 1D72656A
	buffer_load_dwordx4 a[96:99], v66, s[84:87], 0 offen       // 00000000408C: E05C1000 80956042
	v_mfma_f32_16x16x32_fp8_fp8 v[92:95], a[108:109], a[52:53], v[92:95]// 000000004094: D3F3005C 1D72696C
	v_mfma_f32_16x16x32_fp8_fp8 v[92:95], a[110:111], a[54:55], v[92:95]// 00000000409C: D3F3005C 1D726D6E
	ds_read_b128 a[0:3], v2 offset:12416                       // 0000000040A4: DBFE3080 00000002
	ds_read_b128 a[4:7], v2 offset:12480                       // 0000000040AC: DBFE30C0 04000002
	v_mfma_f32_16x16x32_fp8_fp8 v[96:99], a[104:105], a[56:57], v[96:99]// 0000000040B4: D3F30060 1D827168
	v_mfma_f32_16x16x32_fp8_fp8 v[96:99], a[106:107], a[58:59], v[96:99]// 0000000040BC: D3F30060 1D82756A
	buffer_load_dwordx4 a[100:103], v66, s[84:87], 0 offen offset:1024// 0000000040C4: E05C1400 80956442
	v_mfma_f32_16x16x32_fp8_fp8 v[96:99], a[108:109], a[60:61], v[96:99]// 0000000040CC: D3F30060 1D82796C
	v_mfma_f32_16x16x32_fp8_fp8 v[96:99], a[110:111], a[62:63], v[96:99]// 0000000040D4: D3F30060 1D827D6E
	ds_read_b128 a[8:11], v2 offset:12928                      // 0000000040DC: DBFE3280 08000002
	ds_read_b128 a[12:15], v2 offset:12992                     // 0000000040E4: DBFE32C0 0C000002
	v_mfma_f32_16x16x32_fp8_fp8 v[100:103], a[104:105], a[64:65], v[100:103]// 0000000040EC: D3F30064 1D928168
	v_mfma_f32_16x16x32_fp8_fp8 v[100:103], a[106:107], a[66:67], v[100:103]// 0000000040F4: D3F30064 1D92856A
	v_mfma_f32_16x16x32_fp8_fp8 v[100:103], a[108:109], a[68:69], v[100:103]// 0000000040FC: D3F30064 1D92896C
	v_mfma_f32_16x16x32_fp8_fp8 v[100:103], a[110:111], a[70:71], v[100:103]// 000000004104: D3F30064 1D928D6E
	ds_read_b128 a[16:19], v2 offset:13440                     // 00000000410C: DBFE3480 10000002
	ds_read_b128 a[20:23], v2 offset:13504                     // 000000004114: DBFE34C0 14000002
	v_mfma_f32_16x16x32_fp8_fp8 v[104:107], a[104:105], a[72:73], v[104:107]// 00000000411C: D3F30068 1DA29168
	v_mfma_f32_16x16x32_fp8_fp8 v[104:107], a[106:107], a[74:75], v[104:107]// 000000004124: D3F30068 1DA2956A
	v_mfma_f32_16x16x32_fp8_fp8 v[104:107], a[108:109], a[76:77], v[104:107]// 00000000412C: D3F30068 1DA2996C
	v_mfma_f32_16x16x32_fp8_fp8 v[104:107], a[110:111], a[78:79], v[104:107]// 000000004134: D3F30068 1DA29D6E
	ds_read_b128 a[24:27], v2 offset:13952                     // 00000000413C: DBFE3680 18000002
	ds_read_b128 a[28:31], v2 offset:14016                     // 000000004144: DBFE36C0 1C000002
	v_mfma_f32_16x16x32_fp8_fp8 v[108:111], a[104:105], a[80:81], v[108:111]// 00000000414C: D3F3006C 1DB2A168
	s_add_u32 s60, 0x180, s80                                  // 000000004154: 803C50FF 00000180
	s_cmp_lt_u32 s60, s81                                      // 00000000415C: BF0A513C
	s_cselect_b32 s57, s57, 0                                  // 000000004160: 85398039
	v_mfma_f32_16x16x32_fp8_fp8 v[108:111], a[106:107], a[82:83], v[108:111]// 000000004164: D3F3006C 1DB2A56A
	s_add_u32 s60, 0x100, s80                                  // 00000000416C: 803C50FF 00000100
	s_cmp_lt_u32 s60, s81                                      // 000000004174: BF0A513C
	s_cselect_b32 s58, s58, 0                                  // 000000004178: 853A803A
	v_mfma_f32_16x16x32_fp8_fp8 v[108:111], a[108:109], a[84:85], v[108:111]// 00000000417C: D3F3006C 1DB2A96C
	s_add_u32 s60, 0x100, s80                                  // 000000004184: 803C50FF 00000100
	s_cmp_lt_u32 s60, s81                                      // 00000000418C: BF0A513C
	s_cselect_b32 s83, s83, 0                                  // 000000004190: 85538053
	v_mfma_f32_16x16x32_fp8_fp8 v[108:111], a[110:111], a[86:87], v[108:111]// 000000004194: D3F3006C 1DB2AD6E
	ds_read_b128 a[32:35], v2 offset:14464                     // 00000000419C: DBFE3880 20000002
	ds_read_b128 a[36:39], v2 offset:14528                     // 0000000041A4: DBFE38C0 24000002
	s_add_u32 s24, s58, s24                                    // 0000000041AC: 8018183A
	s_addc_u32 s25, 0, s25                                     // 0000000041B0: 82191980
	v_mfma_f32_16x16x32_fp8_fp8 v[112:115], a[104:105], a[88:89], v[112:115]// 0000000041B4: D3F30070 1DC2B168
	s_add_u32 s20, s57, s20                                    // 0000000041BC: 80141439
	s_addc_u32 s21, 0, s21                                     // 0000000041C0: 82151580
	v_mfma_f32_16x16x32_fp8_fp8 v[112:115], a[106:107], a[90:91], v[112:115]// 0000000041C4: D3F30070 1DC2B56A
	s_add_u32 s84, s83, s84                                    // 0000000041CC: 80545453
	s_addc_u32 s85, 0, s85                                     // 0000000041D0: 82555580
	v_mfma_f32_16x16x32_fp8_fp8 v[112:115], a[108:109], a[92:93], v[112:115]// 0000000041D4: D3F30070 1DC2B96C
	v_mfma_f32_16x16x32_fp8_fp8 v[112:115], a[110:111], a[94:95], v[112:115]// 0000000041DC: D3F30070 1DC2BD6E
	ds_read_b128 a[40:43], v2 offset:14976                     // 0000000041E4: DBFE3A80 28000002
	ds_read_b128 a[44:47], v2 offset:15040                     // 0000000041EC: DBFE3AC0 2C000002
	s_addk_i32 s80, 0x80                                       // 0000000041F4: B7500080
	s_cmp_lt_i32 s80, s81                                      // 0000000041F8: BF045150
	s_cbranch_scc0 label_078F                                  // 0000000041FC: BF84018F
	s_waitcnt vmcnt(14) lgkmcnt(0)                             // 000000004200: BF8C007E
	v_mfma_f32_16x16x32_fp8_fp8 v[68:71], a[112:113], a[0:1], v[68:71]// 000000004204: D3F30044 1D120170
	v_mfma_f32_16x16x32_fp8_fp8 v[68:71], a[114:115], a[2:3], v[68:71]// 00000000420C: D3F30044 1D120572
	buffer_load_dwordx4 a[104:107], v66, s[24:27], 0 offen     // 000000004214: E05C1000 80866842
	v_mfma_f32_16x16x32_fp8_fp8 v[68:71], a[116:117], a[4:5], v[68:71]// 00000000421C: D3F30044 1D120974
	v_mfma_f32_16x16x32_fp8_fp8 v[68:71], a[118:119], a[6:7], v[68:71]// 000000004224: D3F30044 1D120D76
	v_mfma_f32_16x16x32_fp8_fp8 v[72:75], a[112:113], a[8:9], v[72:75]// 00000000422C: D3F30048 1D221170
	v_mfma_f32_16x16x32_fp8_fp8 v[72:75], a[114:115], a[10:11], v[72:75]// 000000004234: D3F30048 1D221572
	buffer_load_dwordx4 a[108:111], v66, s[24:27], 0 offen offset:1024// 00000000423C: E05C1400 80866C42
	buffer_load_dword v54, s[20:23], 0 offen lds               // 000000004244: E0511000 80050036
	s_add_u32 m0, 0x100, s48                                   // 00000000424C: 807C30FF 00000100
	v_mfma_f32_16x16x32_fp8_fp8 v[72:75], a[116:117], a[12:13], v[72:75]// 000000004254: D3F30048 1D221974
	v_mfma_f32_16x16x32_fp8_fp8 v[72:75], a[118:119], a[14:15], v[72:75]// 00000000425C: D3F30048 1D221D76
	buffer_load_dword v55, s[20:23], 0 offen lds               // 000000004264: E0511000 80050037
	s_add_u32 m0, 0x200, s48                                   // 00000000426C: 807C30FF 00000200
	v_mfma_f32_16x16x32_fp8_fp8 v[76:79], a[112:113], a[16:17], v[76:79]// 000000004274: D3F3004C 1D322170
	v_mfma_f32_16x16x32_fp8_fp8 v[76:79], a[114:115], a[18:19], v[76:79]// 00000000427C: D3F3004C 1D322572
	buffer_load_dword v56, s[20:23], 0 offen lds               // 000000004284: E0511000 80050038
	s_add_u32 m0, 0x300, s48                                   // 00000000428C: 807C30FF 00000300
	v_mfma_f32_16x16x32_fp8_fp8 v[76:79], a[116:117], a[20:21], v[76:79]// 000000004294: D3F3004C 1D322974
	v_mfma_f32_16x16x32_fp8_fp8 v[76:79], a[118:119], a[22:23], v[76:79]// 00000000429C: D3F3004C 1D322D76
	buffer_load_dword v57, s[20:23], 0 offen lds               // 0000000042A4: E0511000 80050039
	s_add_u32 m0, 0x400, s48                                   // 0000000042AC: 807C30FF 00000400
	v_mfma_f32_16x16x32_fp8_fp8 v[80:83], a[112:113], a[24:25], v[80:83]// 0000000042B4: D3F30050 1D423170
	v_mfma_f32_16x16x32_fp8_fp8 v[80:83], a[114:115], a[26:27], v[80:83]// 0000000042BC: D3F30050 1D423572
	buffer_load_dword v58, s[20:23], 0 offen lds               // 0000000042C4: E0511000 8005003A
	s_add_u32 m0, 0x500, s48                                   // 0000000042CC: 807C30FF 00000500
	v_mfma_f32_16x16x32_fp8_fp8 v[80:83], a[116:117], a[28:29], v[80:83]// 0000000042D4: D3F30050 1D423974
	v_mfma_f32_16x16x32_fp8_fp8 v[80:83], a[118:119], a[30:31], v[80:83]// 0000000042DC: D3F30050 1D423D76
	buffer_load_dword v59, s[20:23], 0 offen lds               // 0000000042E4: E0511000 8005003B
	s_add_u32 m0, 0x600, s48                                   // 0000000042EC: 807C30FF 00000600
	v_mfma_f32_16x16x32_fp8_fp8 v[84:87], a[112:113], a[32:33], v[84:87]// 0000000042F4: D3F30054 1D524170
	v_mfma_f32_16x16x32_fp8_fp8 v[84:87], a[114:115], a[34:35], v[84:87]// 0000000042FC: D3F30054 1D524572
	buffer_load_dword v60, s[20:23], 0 offen lds               // 000000004304: E0511000 8005003C
	s_add_u32 m0, 0x700, s48                                   // 00000000430C: 807C30FF 00000700
	v_mfma_f32_16x16x32_fp8_fp8 v[84:87], a[116:117], a[36:37], v[84:87]// 000000004314: D3F30054 1D524974
	v_mfma_f32_16x16x32_fp8_fp8 v[84:87], a[118:119], a[38:39], v[84:87]// 00000000431C: D3F30054 1D524D76
	buffer_load_dword v61, s[20:23], 0 offen lds               // 000000004324: E0511000 8005003D
	s_add_u32 m0, 0x800, s48                                   // 00000000432C: 807C30FF 00000800
	v_mfma_f32_16x16x32_fp8_fp8 v[88:91], a[112:113], a[40:41], v[88:91]// 000000004334: D3F30058 1D625170
	v_mfma_f32_16x16x32_fp8_fp8 v[88:91], a[114:115], a[42:43], v[88:91]// 00000000433C: D3F30058 1D625572
	buffer_load_dword v62, s[20:23], 0 offen lds               // 000000004344: E0511000 8005003E
	s_add_u32 m0, 0x900, s48                                   // 00000000434C: 807C30FF 00000900
	v_mfma_f32_16x16x32_fp8_fp8 v[88:91], a[116:117], a[44:45], v[88:91]// 000000004354: D3F30058 1D625974
	v_mfma_f32_16x16x32_fp8_fp8 v[88:91], a[118:119], a[46:47], v[88:91]// 00000000435C: D3F30058 1D625D76
	buffer_load_dword v63, s[20:23], 0 offen lds               // 000000004364: E0511000 8005003F
	s_add_u32 m0, 0xa00, s48                                   // 00000000436C: 807C30FF 00000A00
	buffer_load_dword v64, s[20:23], 0 offen lds               // 000000004374: E0511000 80050040
	s_add_u32 m0, 0xb00, s48                                   // 00000000437C: 807C30FF 00000B00
	buffer_load_dword v65, s[20:23], 0 offen lds               // 000000004384: E0511000 80050041
	s_add_u32 m0, 0, s49                                       // 00000000438C: 807C3180
	s_waitcnt vmcnt(14)                                        // 000000004390: BF8C0F7E
	s_barrier                                                  // 000000004394: BF8A0000
	v_mfma_f32_16x16x32_fp8_fp8 v[92:95], a[96:97], a[0:1], v[92:95]// 000000004398: D3F3005C 1D720160
	v_mfma_f32_16x16x32_fp8_fp8 v[92:95], a[98:99], a[2:3], v[92:95]// 0000000043A0: D3F3005C 1D720562
	buffer_load_dwordx4 a[112:115], v66, s[84:87], 0 offen     // 0000000043A8: E05C1000 80957042
	v_mfma_f32_16x16x32_fp8_fp8 v[92:95], a[100:101], a[4:5], v[92:95]// 0000000043B0: D3F3005C 1D720964
	v_mfma_f32_16x16x32_fp8_fp8 v[92:95], a[102:103], a[6:7], v[92:95]// 0000000043B8: D3F3005C 1D720D66
	ds_read_b128 a[48:51], v2 offset:24832                     // 0000000043C0: DBFE6100 30000002
	ds_read_b128 a[52:55], v2 offset:24896                     // 0000000043C8: DBFE6140 34000002
	v_mfma_f32_16x16x32_fp8_fp8 v[96:99], a[96:97], a[8:9], v[96:99]// 0000000043D0: D3F30060 1D821160
	v_mfma_f32_16x16x32_fp8_fp8 v[96:99], a[98:99], a[10:11], v[96:99]// 0000000043D8: D3F30060 1D821562
	buffer_load_dwordx4 a[116:119], v66, s[84:87], 0 offen offset:1024// 0000000043E0: E05C1400 80957442
	v_mfma_f32_16x16x32_fp8_fp8 v[96:99], a[100:101], a[12:13], v[96:99]// 0000000043E8: D3F30060 1D821964
	v_mfma_f32_16x16x32_fp8_fp8 v[96:99], a[102:103], a[14:15], v[96:99]// 0000000043F0: D3F30060 1D821D66
	ds_read_b128 a[56:59], v2 offset:25344                     // 0000000043F8: DBFE6300 38000002
	ds_read_b128 a[60:63], v2 offset:25408                     // 000000004400: DBFE6340 3C000002
	v_mfma_f32_16x16x32_fp8_fp8 v[100:103], a[96:97], a[16:17], v[100:103]// 000000004408: D3F30064 1D922160
	v_mfma_f32_16x16x32_fp8_fp8 v[100:103], a[98:99], a[18:19], v[100:103]// 000000004410: D3F30064 1D922562
	v_mfma_f32_16x16x32_fp8_fp8 v[100:103], a[100:101], a[20:21], v[100:103]// 000000004418: D3F30064 1D922964
	v_mfma_f32_16x16x32_fp8_fp8 v[100:103], a[102:103], a[22:23], v[100:103]// 000000004420: D3F30064 1D922D66
	ds_read_b128 a[64:67], v2 offset:25856                     // 000000004428: DBFE6500 40000002
	ds_read_b128 a[68:71], v2 offset:25920                     // 000000004430: DBFE6540 44000002
	v_mfma_f32_16x16x32_fp8_fp8 v[104:107], a[96:97], a[24:25], v[104:107]// 000000004438: D3F30068 1DA23160
	v_mfma_f32_16x16x32_fp8_fp8 v[104:107], a[98:99], a[26:27], v[104:107]// 000000004440: D3F30068 1DA23562
	v_mfma_f32_16x16x32_fp8_fp8 v[104:107], a[100:101], a[28:29], v[104:107]// 000000004448: D3F30068 1DA23964
	v_mfma_f32_16x16x32_fp8_fp8 v[104:107], a[102:103], a[30:31], v[104:107]// 000000004450: D3F30068 1DA23D66
	ds_read_b128 a[72:75], v2 offset:26368                     // 000000004458: DBFE6700 48000002
	ds_read_b128 a[76:79], v2 offset:26432                     // 000000004460: DBFE6740 4C000002
	v_mfma_f32_16x16x32_fp8_fp8 v[108:111], a[96:97], a[32:33], v[108:111]// 000000004468: D3F3006C 1DB24160
	s_add_u32 s60, 0x180, s80                                  // 000000004470: 803C50FF 00000180
	s_cmp_lt_u32 s60, s81                                      // 000000004478: BF0A513C
	s_cselect_b32 s57, s57, 0                                  // 00000000447C: 85398039
	v_mfma_f32_16x16x32_fp8_fp8 v[108:111], a[98:99], a[34:35], v[108:111]// 000000004480: D3F3006C 1DB24562
	s_add_u32 s60, 0x100, s80                                  // 000000004488: 803C50FF 00000100
	s_cmp_lt_u32 s60, s81                                      // 000000004490: BF0A513C
	s_cselect_b32 s58, s58, 0                                  // 000000004494: 853A803A
	v_mfma_f32_16x16x32_fp8_fp8 v[108:111], a[100:101], a[36:37], v[108:111]// 000000004498: D3F3006C 1DB24964
	s_add_u32 s60, 0x100, s80                                  // 0000000044A0: 803C50FF 00000100
	s_cmp_lt_u32 s60, s81                                      // 0000000044A8: BF0A513C
	s_cselect_b32 s83, s83, 0                                  // 0000000044AC: 85538053
	v_mfma_f32_16x16x32_fp8_fp8 v[108:111], a[102:103], a[38:39], v[108:111]// 0000000044B0: D3F3006C 1DB24D66
	ds_read_b128 a[80:83], v2 offset:26880                     // 0000000044B8: DBFE6900 50000002
	ds_read_b128 a[84:87], v2 offset:26944                     // 0000000044C0: DBFE6940 54000002
	s_add_u32 s24, s58, s24                                    // 0000000044C8: 8018183A
	s_addc_u32 s25, 0, s25                                     // 0000000044CC: 82191980
	v_mfma_f32_16x16x32_fp8_fp8 v[112:115], a[96:97], a[40:41], v[112:115]// 0000000044D0: D3F30070 1DC25160
	s_add_u32 s20, s57, s20                                    // 0000000044D8: 80141439
	s_addc_u32 s21, 0, s21                                     // 0000000044DC: 82151580
	v_mfma_f32_16x16x32_fp8_fp8 v[112:115], a[98:99], a[42:43], v[112:115]// 0000000044E0: D3F30070 1DC25562
	s_add_u32 s84, s83, s84                                    // 0000000044E8: 80545453
	s_addc_u32 s85, 0, s85                                     // 0000000044EC: 82555580
	v_mfma_f32_16x16x32_fp8_fp8 v[112:115], a[100:101], a[44:45], v[112:115]// 0000000044F0: D3F30070 1DC25964
	v_mfma_f32_16x16x32_fp8_fp8 v[112:115], a[102:103], a[46:47], v[112:115]// 0000000044F8: D3F30070 1DC25D66
	ds_read_b128 a[88:91], v2 offset:27392                     // 000000004500: DBFE6B00 58000002
	ds_read_b128 a[92:95], v2 offset:27456                     // 000000004508: DBFE6B40 5C000002
	s_addk_i32 s80, 0x80                                       // 000000004510: B7500080
	s_cmp_lt_i32 s80, s81                                      // 000000004514: BF045150
	s_cbranch_scc0 label_078F                                  // 000000004518: BF8400C8
	s_waitcnt vmcnt(14) lgkmcnt(0)                             // 00000000451C: BF8C007E
	v_mfma_f32_16x16x32_fp8_fp8 v[68:71], a[104:105], a[48:49], v[68:71]// 000000004520: D3F30044 1D126168
	v_mfma_f32_16x16x32_fp8_fp8 v[68:71], a[106:107], a[50:51], v[68:71]// 000000004528: D3F30044 1D12656A
	buffer_load_dwordx4 a[96:99], v66, s[24:27], 0 offen       // 000000004530: E05C1000 80866042
	v_mfma_f32_16x16x32_fp8_fp8 v[68:71], a[108:109], a[52:53], v[68:71]// 000000004538: D3F30044 1D12696C
	v_mfma_f32_16x16x32_fp8_fp8 v[68:71], a[110:111], a[54:55], v[68:71]// 000000004540: D3F30044 1D126D6E
	v_mfma_f32_16x16x32_fp8_fp8 v[72:75], a[104:105], a[56:57], v[72:75]// 000000004548: D3F30048 1D227168
	v_mfma_f32_16x16x32_fp8_fp8 v[72:75], a[106:107], a[58:59], v[72:75]// 000000004550: D3F30048 1D22756A
	buffer_load_dwordx4 a[100:103], v66, s[24:27], 0 offen offset:1024// 000000004558: E05C1400 80866442
	buffer_load_dword v54, s[20:23], 0 offen lds               // 000000004560: E0511000 80050036
	s_add_u32 m0, 0x100, s49                                   // 000000004568: 807C31FF 00000100
	v_mfma_f32_16x16x32_fp8_fp8 v[72:75], a[108:109], a[60:61], v[72:75]// 000000004570: D3F30048 1D22796C
	v_mfma_f32_16x16x32_fp8_fp8 v[72:75], a[110:111], a[62:63], v[72:75]// 000000004578: D3F30048 1D227D6E
	buffer_load_dword v55, s[20:23], 0 offen lds               // 000000004580: E0511000 80050037
	s_add_u32 m0, 0x200, s49                                   // 000000004588: 807C31FF 00000200
	v_mfma_f32_16x16x32_fp8_fp8 v[76:79], a[104:105], a[64:65], v[76:79]// 000000004590: D3F3004C 1D328168
	v_mfma_f32_16x16x32_fp8_fp8 v[76:79], a[106:107], a[66:67], v[76:79]// 000000004598: D3F3004C 1D32856A
	buffer_load_dword v56, s[20:23], 0 offen lds               // 0000000045A0: E0511000 80050038
	s_add_u32 m0, 0x300, s49                                   // 0000000045A8: 807C31FF 00000300
	v_mfma_f32_16x16x32_fp8_fp8 v[76:79], a[108:109], a[68:69], v[76:79]// 0000000045B0: D3F3004C 1D32896C
	v_mfma_f32_16x16x32_fp8_fp8 v[76:79], a[110:111], a[70:71], v[76:79]// 0000000045B8: D3F3004C 1D328D6E
	buffer_load_dword v57, s[20:23], 0 offen lds               // 0000000045C0: E0511000 80050039
	s_add_u32 m0, 0x400, s49                                   // 0000000045C8: 807C31FF 00000400
	v_mfma_f32_16x16x32_fp8_fp8 v[80:83], a[104:105], a[72:73], v[80:83]// 0000000045D0: D3F30050 1D429168
	v_mfma_f32_16x16x32_fp8_fp8 v[80:83], a[106:107], a[74:75], v[80:83]// 0000000045D8: D3F30050 1D42956A
	buffer_load_dword v58, s[20:23], 0 offen lds               // 0000000045E0: E0511000 8005003A
	s_add_u32 m0, 0x500, s49                                   // 0000000045E8: 807C31FF 00000500
	v_mfma_f32_16x16x32_fp8_fp8 v[80:83], a[108:109], a[76:77], v[80:83]// 0000000045F0: D3F30050 1D42996C
	v_mfma_f32_16x16x32_fp8_fp8 v[80:83], a[110:111], a[78:79], v[80:83]// 0000000045F8: D3F30050 1D429D6E
	buffer_load_dword v59, s[20:23], 0 offen lds               // 000000004600: E0511000 8005003B
	s_add_u32 m0, 0x600, s49                                   // 000000004608: 807C31FF 00000600
	v_mfma_f32_16x16x32_fp8_fp8 v[84:87], a[104:105], a[80:81], v[84:87]// 000000004610: D3F30054 1D52A168
	v_mfma_f32_16x16x32_fp8_fp8 v[84:87], a[106:107], a[82:83], v[84:87]// 000000004618: D3F30054 1D52A56A
	buffer_load_dword v60, s[20:23], 0 offen lds               // 000000004620: E0511000 8005003C
	s_add_u32 m0, 0x700, s49                                   // 000000004628: 807C31FF 00000700
	v_mfma_f32_16x16x32_fp8_fp8 v[84:87], a[108:109], a[84:85], v[84:87]// 000000004630: D3F30054 1D52A96C
	v_mfma_f32_16x16x32_fp8_fp8 v[84:87], a[110:111], a[86:87], v[84:87]// 000000004638: D3F30054 1D52AD6E
	buffer_load_dword v61, s[20:23], 0 offen lds               // 000000004640: E0511000 8005003D
	s_add_u32 m0, 0x800, s49                                   // 000000004648: 807C31FF 00000800
	v_mfma_f32_16x16x32_fp8_fp8 v[88:91], a[104:105], a[88:89], v[88:91]// 000000004650: D3F30058 1D62B168
	v_mfma_f32_16x16x32_fp8_fp8 v[88:91], a[106:107], a[90:91], v[88:91]// 000000004658: D3F30058 1D62B56A
	buffer_load_dword v62, s[20:23], 0 offen lds               // 000000004660: E0511000 8005003E
	s_add_u32 m0, 0x900, s49                                   // 000000004668: 807C31FF 00000900
	v_mfma_f32_16x16x32_fp8_fp8 v[88:91], a[108:109], a[92:93], v[88:91]// 000000004670: D3F30058 1D62B96C
	v_mfma_f32_16x16x32_fp8_fp8 v[88:91], a[110:111], a[94:95], v[88:91]// 000000004678: D3F30058 1D62BD6E
	buffer_load_dword v63, s[20:23], 0 offen lds               // 000000004680: E0511000 8005003F
	s_add_u32 m0, 0xa00, s49                                   // 000000004688: 807C31FF 00000A00
	buffer_load_dword v64, s[20:23], 0 offen lds               // 000000004690: E0511000 80050040
	s_add_u32 m0, 0xb00, s49                                   // 000000004698: 807C31FF 00000B00
	buffer_load_dword v65, s[20:23], 0 offen lds               // 0000000046A0: E0511000 80050041
	s_add_u32 m0, 0, s50                                       // 0000000046A8: 807C3280
	s_waitcnt vmcnt(14)                                        // 0000000046AC: BF8C0F7E
	s_barrier                                                  // 0000000046B0: BF8A0000
	v_mfma_f32_16x16x32_fp8_fp8 v[92:95], a[112:113], a[48:49], v[92:95]// 0000000046B4: D3F3005C 1D726170
	v_mfma_f32_16x16x32_fp8_fp8 v[92:95], a[114:115], a[50:51], v[92:95]// 0000000046BC: D3F3005C 1D726572
	buffer_load_dwordx4 a[104:107], v66, s[84:87], 0 offen     // 0000000046C4: E05C1000 80956842
	v_mfma_f32_16x16x32_fp8_fp8 v[92:95], a[116:117], a[52:53], v[92:95]// 0000000046CC: D3F3005C 1D726974
	v_mfma_f32_16x16x32_fp8_fp8 v[92:95], a[118:119], a[54:55], v[92:95]// 0000000046D4: D3F3005C 1D726D76
	ds_read_b128 a[0:3], v2                                    // 0000000046DC: DBFE0000 00000002
	ds_read_b128 a[4:7], v2 offset:64                          // 0000000046E4: DBFE0040 04000002
	v_mfma_f32_16x16x32_fp8_fp8 v[96:99], a[112:113], a[56:57], v[96:99]// 0000000046EC: D3F30060 1D827170
	v_mfma_f32_16x16x32_fp8_fp8 v[96:99], a[114:115], a[58:59], v[96:99]// 0000000046F4: D3F30060 1D827572
	buffer_load_dwordx4 a[108:111], v66, s[84:87], 0 offen offset:1024// 0000000046FC: E05C1400 80956C42
	v_mfma_f32_16x16x32_fp8_fp8 v[96:99], a[116:117], a[60:61], v[96:99]// 000000004704: D3F30060 1D827974
	v_mfma_f32_16x16x32_fp8_fp8 v[96:99], a[118:119], a[62:63], v[96:99]// 00000000470C: D3F30060 1D827D76
	ds_read_b128 a[8:11], v2 offset:512                        // 000000004714: DBFE0200 08000002
	ds_read_b128 a[12:15], v2 offset:576                       // 00000000471C: DBFE0240 0C000002
	v_mfma_f32_16x16x32_fp8_fp8 v[100:103], a[112:113], a[64:65], v[100:103]// 000000004724: D3F30064 1D928170
	v_mfma_f32_16x16x32_fp8_fp8 v[100:103], a[114:115], a[66:67], v[100:103]// 00000000472C: D3F30064 1D928572
	v_mfma_f32_16x16x32_fp8_fp8 v[100:103], a[116:117], a[68:69], v[100:103]// 000000004734: D3F30064 1D928974
	v_mfma_f32_16x16x32_fp8_fp8 v[100:103], a[118:119], a[70:71], v[100:103]// 00000000473C: D3F30064 1D928D76
	ds_read_b128 a[16:19], v2 offset:1024                      // 000000004744: DBFE0400 10000002
	ds_read_b128 a[20:23], v2 offset:1088                      // 00000000474C: DBFE0440 14000002
	v_mfma_f32_16x16x32_fp8_fp8 v[104:107], a[112:113], a[72:73], v[104:107]// 000000004754: D3F30068 1DA29170
	v_mfma_f32_16x16x32_fp8_fp8 v[104:107], a[114:115], a[74:75], v[104:107]// 00000000475C: D3F30068 1DA29572
	v_mfma_f32_16x16x32_fp8_fp8 v[104:107], a[116:117], a[76:77], v[104:107]// 000000004764: D3F30068 1DA29974
	v_mfma_f32_16x16x32_fp8_fp8 v[104:107], a[118:119], a[78:79], v[104:107]// 00000000476C: D3F30068 1DA29D76
	ds_read_b128 a[24:27], v2 offset:1536                      // 000000004774: DBFE0600 18000002
	ds_read_b128 a[28:31], v2 offset:1600                      // 00000000477C: DBFE0640 1C000002
	v_mfma_f32_16x16x32_fp8_fp8 v[108:111], a[112:113], a[80:81], v[108:111]// 000000004784: D3F3006C 1DB2A170
	s_add_u32 s60, 0x180, s80                                  // 00000000478C: 803C50FF 00000180
	s_cmp_lt_u32 s60, s81                                      // 000000004794: BF0A513C
	s_cselect_b32 s57, s57, 0                                  // 000000004798: 85398039
	v_mfma_f32_16x16x32_fp8_fp8 v[108:111], a[114:115], a[82:83], v[108:111]// 00000000479C: D3F3006C 1DB2A572
	s_add_u32 s60, 0x100, s80                                  // 0000000047A4: 803C50FF 00000100
	s_cmp_lt_u32 s60, s81                                      // 0000000047AC: BF0A513C
	s_cselect_b32 s58, s58, 0                                  // 0000000047B0: 853A803A
	v_mfma_f32_16x16x32_fp8_fp8 v[108:111], a[116:117], a[84:85], v[108:111]// 0000000047B4: D3F3006C 1DB2A974
	s_add_u32 s60, 0x100, s80                                  // 0000000047BC: 803C50FF 00000100
	s_cmp_lt_u32 s60, s81                                      // 0000000047C4: BF0A513C
	s_cselect_b32 s83, s83, 0                                  // 0000000047C8: 85538053
	v_mfma_f32_16x16x32_fp8_fp8 v[108:111], a[118:119], a[86:87], v[108:111]// 0000000047CC: D3F3006C 1DB2AD76
	ds_read_b128 a[32:35], v2 offset:2048                      // 0000000047D4: DBFE0800 20000002
	ds_read_b128 a[36:39], v2 offset:2112                      // 0000000047DC: DBFE0840 24000002
	s_add_u32 s24, s58, s24                                    // 0000000047E4: 8018183A
	s_addc_u32 s25, 0, s25                                     // 0000000047E8: 82191980
	v_mfma_f32_16x16x32_fp8_fp8 v[112:115], a[112:113], a[88:89], v[112:115]// 0000000047EC: D3F30070 1DC2B170
	s_add_u32 s20, s57, s20                                    // 0000000047F4: 80141439
	s_addc_u32 s21, 0, s21                                     // 0000000047F8: 82151580
	v_mfma_f32_16x16x32_fp8_fp8 v[112:115], a[114:115], a[90:91], v[112:115]// 0000000047FC: D3F30070 1DC2B572
	s_add_u32 s84, s83, s84                                    // 000000004804: 80545453
	s_addc_u32 s85, 0, s85                                     // 000000004808: 82555580
	v_mfma_f32_16x16x32_fp8_fp8 v[112:115], a[116:117], a[92:93], v[112:115]// 00000000480C: D3F30070 1DC2B974
	v_mfma_f32_16x16x32_fp8_fp8 v[112:115], a[118:119], a[94:95], v[112:115]// 000000004814: D3F30070 1DC2BD76
	ds_read_b128 a[40:43], v2 offset:2560                      // 00000000481C: DBFE0A00 28000002
	ds_read_b128 a[44:47], v2 offset:2624                      // 000000004824: DBFE0A40 2C000002
	s_addk_i32 s80, 0x80                                       // 00000000482C: B7500080
	s_cmp_lt_i32 s80, s81                                      // 000000004830: BF045150
	s_cbranch_scc0 label_078F                                  // 000000004834: BF840001
	s_branch label_02E4                                        // 000000004838: BF82FB55

000000000000483c <label_078F>:
	v_mul_f32_dpp v68, v24, v68 row_newbcast:0 row_mask:0xf bank_mask:0xf// 00000000483C: 0A8888FA FF015018
	v_mul_f32_dpp v69, v24, v69 row_newbcast:1 row_mask:0xf bank_mask:0xf// 000000004844: 0A8A8AFA FF015118
	v_mul_f32_dpp v70, v24, v70 row_newbcast:2 row_mask:0xf bank_mask:0xf// 00000000484C: 0A8C8CFA FF015218
	v_mul_f32_dpp v71, v24, v71 row_newbcast:3 row_mask:0xf bank_mask:0xf// 000000004854: 0A8E8EFA FF015318
	v_mul_f32_dpp v72, v24, v72 row_newbcast:0 row_mask:0xf bank_mask:0xf// 00000000485C: 0A9090FA FF015018
	v_mul_f32_dpp v73, v24, v73 row_newbcast:1 row_mask:0xf bank_mask:0xf// 000000004864: 0A9292FA FF015118
	v_mul_f32_dpp v74, v24, v74 row_newbcast:2 row_mask:0xf bank_mask:0xf// 00000000486C: 0A9494FA FF015218
	v_mul_f32_dpp v75, v24, v75 row_newbcast:3 row_mask:0xf bank_mask:0xf// 000000004874: 0A9696FA FF015318
	v_mul_f32_dpp v76, v24, v76 row_newbcast:0 row_mask:0xf bank_mask:0xf// 00000000487C: 0A9898FA FF015018
	v_mul_f32_dpp v77, v24, v77 row_newbcast:1 row_mask:0xf bank_mask:0xf// 000000004884: 0A9A9AFA FF015118
	v_mul_f32_dpp v78, v24, v78 row_newbcast:2 row_mask:0xf bank_mask:0xf// 00000000488C: 0A9C9CFA FF015218
	v_mul_f32_dpp v79, v24, v79 row_newbcast:3 row_mask:0xf bank_mask:0xf// 000000004894: 0A9E9EFA FF015318
	v_mul_f32_dpp v80, v24, v80 row_newbcast:0 row_mask:0xf bank_mask:0xf// 00000000489C: 0AA0A0FA FF015018
	v_mul_f32_dpp v81, v24, v81 row_newbcast:1 row_mask:0xf bank_mask:0xf// 0000000048A4: 0AA2A2FA FF015118
	v_mul_f32_dpp v82, v24, v82 row_newbcast:2 row_mask:0xf bank_mask:0xf// 0000000048AC: 0AA4A4FA FF015218
	v_mul_f32_dpp v83, v24, v83 row_newbcast:3 row_mask:0xf bank_mask:0xf// 0000000048B4: 0AA6A6FA FF015318
	v_mul_f32_dpp v84, v24, v84 row_newbcast:0 row_mask:0xf bank_mask:0xf// 0000000048BC: 0AA8A8FA FF015018
	v_mul_f32_dpp v85, v24, v85 row_newbcast:1 row_mask:0xf bank_mask:0xf// 0000000048C4: 0AAAAAFA FF015118
	v_mul_f32_dpp v86, v24, v86 row_newbcast:2 row_mask:0xf bank_mask:0xf// 0000000048CC: 0AACACFA FF015218
	v_mul_f32_dpp v87, v24, v87 row_newbcast:3 row_mask:0xf bank_mask:0xf// 0000000048D4: 0AAEAEFA FF015318
	v_mul_f32_dpp v88, v24, v88 row_newbcast:0 row_mask:0xf bank_mask:0xf// 0000000048DC: 0AB0B0FA FF015018
	v_mul_f32_dpp v89, v24, v89 row_newbcast:1 row_mask:0xf bank_mask:0xf// 0000000048E4: 0AB2B2FA FF015118
	v_mul_f32_dpp v90, v24, v90 row_newbcast:2 row_mask:0xf bank_mask:0xf// 0000000048EC: 0AB4B4FA FF015218
	v_mul_f32_dpp v91, v24, v91 row_newbcast:3 row_mask:0xf bank_mask:0xf// 0000000048F4: 0AB6B6FA FF015318
	v_mul_f32_dpp v92, v27, v92 row_newbcast:0 row_mask:0xf bank_mask:0xf// 0000000048FC: 0AB8B8FA FF01501B
	v_mul_f32_dpp v93, v27, v93 row_newbcast:1 row_mask:0xf bank_mask:0xf// 000000004904: 0ABABAFA FF01511B
	v_mul_f32_dpp v94, v27, v94 row_newbcast:2 row_mask:0xf bank_mask:0xf// 00000000490C: 0ABCBCFA FF01521B
	v_mul_f32_dpp v95, v27, v95 row_newbcast:3 row_mask:0xf bank_mask:0xf// 000000004914: 0ABEBEFA FF01531B
	v_mul_f32_dpp v96, v27, v96 row_newbcast:0 row_mask:0xf bank_mask:0xf// 00000000491C: 0AC0C0FA FF01501B
	v_mul_f32_dpp v97, v27, v97 row_newbcast:1 row_mask:0xf bank_mask:0xf// 000000004924: 0AC2C2FA FF01511B
	v_mul_f32_dpp v98, v27, v98 row_newbcast:2 row_mask:0xf bank_mask:0xf// 00000000492C: 0AC4C4FA FF01521B
	v_mul_f32_dpp v99, v27, v99 row_newbcast:3 row_mask:0xf bank_mask:0xf// 000000004934: 0AC6C6FA FF01531B
	v_mul_f32_dpp v100, v27, v100 row_newbcast:0 row_mask:0xf bank_mask:0xf// 00000000493C: 0AC8C8FA FF01501B
	v_mul_f32_dpp v101, v27, v101 row_newbcast:1 row_mask:0xf bank_mask:0xf// 000000004944: 0ACACAFA FF01511B
	v_mul_f32_dpp v102, v27, v102 row_newbcast:2 row_mask:0xf bank_mask:0xf// 00000000494C: 0ACCCCFA FF01521B
	v_mul_f32_dpp v103, v27, v103 row_newbcast:3 row_mask:0xf bank_mask:0xf// 000000004954: 0ACECEFA FF01531B
	v_mul_f32_dpp v104, v27, v104 row_newbcast:0 row_mask:0xf bank_mask:0xf// 00000000495C: 0AD0D0FA FF01501B
	v_mul_f32_dpp v105, v27, v105 row_newbcast:1 row_mask:0xf bank_mask:0xf// 000000004964: 0AD2D2FA FF01511B
	v_mul_f32_dpp v106, v27, v106 row_newbcast:2 row_mask:0xf bank_mask:0xf// 00000000496C: 0AD4D4FA FF01521B
	v_mul_f32_dpp v107, v27, v107 row_newbcast:3 row_mask:0xf bank_mask:0xf// 000000004974: 0AD6D6FA FF01531B
	v_mul_f32_dpp v108, v27, v108 row_newbcast:0 row_mask:0xf bank_mask:0xf// 00000000497C: 0AD8D8FA FF01501B
	v_mul_f32_dpp v109, v27, v109 row_newbcast:1 row_mask:0xf bank_mask:0xf// 000000004984: 0ADADAFA FF01511B
	v_mul_f32_dpp v110, v27, v110 row_newbcast:2 row_mask:0xf bank_mask:0xf// 00000000498C: 0ADCDCFA FF01521B
	v_mul_f32_dpp v111, v27, v111 row_newbcast:3 row_mask:0xf bank_mask:0xf// 000000004994: 0ADEDEFA FF01531B
	v_mul_f32_dpp v112, v27, v112 row_newbcast:0 row_mask:0xf bank_mask:0xf// 00000000499C: 0AE0E0FA FF01501B
	v_mul_f32_dpp v113, v27, v113 row_newbcast:1 row_mask:0xf bank_mask:0xf// 0000000049A4: 0AE2E2FA FF01511B
	v_mul_f32_dpp v114, v27, v114 row_newbcast:2 row_mask:0xf bank_mask:0xf// 0000000049AC: 0AE4E4FA FF01521B
	v_mul_f32_dpp v115, v27, v115 row_newbcast:3 row_mask:0xf bank_mask:0xf// 0000000049B4: 0AE6E6FA FF01531B
	v_mul_f32_e32 v36, v36, v116                               // 0000000049BC: 0A48E924
	v_mov_b32_e32 v4, v36                                      // 0000000049C0: 7E080324
	v_mov_b32_e32 v5, v4                                       // 0000000049C4: 7E0A0304
	v_pk_mul_f32 v[68:69], v[4:5], v[68:69]                    // 0000000049C8: D3B14044 18028904
	v_pk_mul_f32 v[92:93], v[4:5], v[92:93]                    // 0000000049D0: D3B1405C 1802B904
	v_pk_mul_f32 v[70:71], v[4:5], v[70:71]                    // 0000000049D8: D3B14046 18028D04
	v_pk_mul_f32 v[94:95], v[4:5], v[94:95]                    // 0000000049E0: D3B1405E 1802BD04
	v_mul_f32_e32 v37, v37, v117                               // 0000000049E8: 0A4AEB25
	v_mov_b32_e32 v4, v37                                      // 0000000049EC: 7E080325
	v_mov_b32_e32 v5, v4                                       // 0000000049F0: 7E0A0304
	v_pk_mul_f32 v[72:73], v[4:5], v[72:73]                    // 0000000049F4: D3B14048 18029104
	v_pk_mul_f32 v[96:97], v[4:5], v[96:97]                    // 0000000049FC: D3B14060 1802C104
	v_pk_mul_f32 v[74:75], v[4:5], v[74:75]                    // 000000004A04: D3B1404A 18029504
	v_pk_mul_f32 v[98:99], v[4:5], v[98:99]                    // 000000004A0C: D3B14062 1802C504
	v_mul_f32_e32 v38, v38, v118                               // 000000004A14: 0A4CED26
	v_mov_b32_e32 v4, v38                                      // 000000004A18: 7E080326
	v_mov_b32_e32 v5, v4                                       // 000000004A1C: 7E0A0304
	v_pk_mul_f32 v[76:77], v[4:5], v[76:77]                    // 000000004A20: D3B1404C 18029904
	v_pk_mul_f32 v[100:101], v[4:5], v[100:101]                // 000000004A28: D3B14064 1802C904
	v_pk_mul_f32 v[78:79], v[4:5], v[78:79]                    // 000000004A30: D3B1404E 18029D04
	v_pk_mul_f32 v[102:103], v[4:5], v[102:103]                // 000000004A38: D3B14066 1802CD04
	v_mul_f32_e32 v39, v39, v119                               // 000000004A40: 0A4EEF27
	v_mov_b32_e32 v4, v39                                      // 000000004A44: 7E080327
	v_mov_b32_e32 v5, v4                                       // 000000004A48: 7E0A0304
	v_pk_mul_f32 v[80:81], v[4:5], v[80:81]                    // 000000004A4C: D3B14050 1802A104
	v_pk_mul_f32 v[104:105], v[4:5], v[104:105]                // 000000004A54: D3B14068 1802D104
	v_pk_mul_f32 v[82:83], v[4:5], v[82:83]                    // 000000004A5C: D3B14052 1802A504
	v_pk_mul_f32 v[106:107], v[4:5], v[106:107]                // 000000004A64: D3B1406A 1802D504
	v_mul_f32_e32 v40, v40, v120                               // 000000004A6C: 0A50F128
	v_mov_b32_e32 v4, v40                                      // 000000004A70: 7E080328
	v_mov_b32_e32 v5, v4                                       // 000000004A74: 7E0A0304
	v_pk_mul_f32 v[84:85], v[4:5], v[84:85]                    // 000000004A78: D3B14054 1802A904
	v_pk_mul_f32 v[108:109], v[4:5], v[108:109]                // 000000004A80: D3B1406C 1802D904
	v_pk_mul_f32 v[86:87], v[4:5], v[86:87]                    // 000000004A88: D3B14056 1802AD04
	v_pk_mul_f32 v[110:111], v[4:5], v[110:111]                // 000000004A90: D3B1406E 1802DD04
	v_mul_f32_e32 v41, v41, v121                               // 000000004A98: 0A52F329
	v_mov_b32_e32 v4, v41                                      // 000000004A9C: 7E080329
	v_mov_b32_e32 v5, v4                                       // 000000004AA0: 7E0A0304
	v_pk_mul_f32 v[88:89], v[4:5], v[88:89]                    // 000000004AA4: D3B14058 1802B104
	v_pk_mul_f32 v[112:113], v[4:5], v[112:113]                // 000000004AAC: D3B14070 1802E104
	v_pk_mul_f32 v[90:91], v[4:5], v[90:91]                    // 000000004AB4: D3B1405A 1802B504
	v_pk_mul_f32 v[114:115], v[4:5], v[114:115]                // 000000004ABC: D3B14072 1802E504
	s_cmp_eq_u32 s88, 0                                        // 000000004AC4: BF068058
	s_cbranch_scc0 label_0CB0                                  // 000000004AC8: BF84047D
	s_cmp_eq_u32 s89, 0                                        // 000000004ACC: BF068059
	s_cbranch_scc1 label_092A                                  // 000000004AD0: BF8500F5
	v_mov_b32_e32 v8, v1                                       // 000000004AD4: 7E100301
	v_mov_b32_e32 v9, v1                                       // 000000004AD8: 7E120301
	s_mov_b32 s60, s6                                          // 000000004ADC: BEBC0006
	s_mov_b32 s61, s6                                          // 000000004AE0: BEBD0006
	v_pk_mul_f32 v[4:5], v[68:69], v[68:69]                    // 000000004AE4: D3B14004 18028944
	v_pk_mul_f32 v[6:7], v[70:71], v[70:71]                    // 000000004AEC: D3B14006 18028D46
	v_pk_fma_f32 v[4:5], v[4:5], s[78:79], v[8:9]              // 000000004AF4: D3B04004 1C209D04
	v_pk_fma_f32 v[6:7], v[6:7], s[78:79], v[8:9]              // 000000004AFC: D3B04006 1C209D06
	v_pk_mul_f32 v[4:5], v[4:5], v[68:69]                      // 000000004B04: D3B14004 18028904
	v_pk_mul_f32 v[6:7], v[6:7], v[70:71]                      // 000000004B0C: D3B14006 18028D06
	v_pk_mul_f32 v[4:5], v[4:5], s[60:61]                      // 000000004B14: D3B14004 18007904
	v_pk_mul_f32 v[6:7], v[6:7], s[60:61]                      // 000000004B1C: D3B14006 18007906
	v_exp_f32_e32 v4, v4                                       // 000000004B24: 7E084104
	v_exp_f32_e32 v5, v5                                       // 000000004B28: 7E0A4105
	v_exp_f32_e32 v6, v6                                       // 000000004B2C: 7E0C4106
	v_exp_f32_e32 v7, v7                                       // 000000004B30: 7E0E4107
	v_add_f32_e64 v4, v4, 1.0                                  // 000000004B34: D1010004 0001E504
	v_add_f32_e64 v5, v5, 1.0                                  // 000000004B3C: D1010005 0001E505
	v_add_f32_e64 v6, v6, 1.0                                  // 000000004B44: D1010006 0001E506
	v_add_f32_e64 v7, v7, 1.0                                  // 000000004B4C: D1010007 0001E507
	v_rcp_f32_e32 v4, v4                                       // 000000004B54: 7E084504
	v_rcp_f32_e32 v5, v5                                       // 000000004B58: 7E0A4505
	v_rcp_f32_e32 v6, v6                                       // 000000004B5C: 7E0C4506
	v_rcp_f32_e32 v7, v7                                       // 000000004B60: 7E0E4507
	v_mul_f32_e32 v68, v68, v4                                 // 000000004B64: 0A880944
	v_mul_f32_e32 v69, v69, v5                                 // 000000004B68: 0A8A0B45
	v_mul_f32_e32 v70, v70, v6                                 // 000000004B6C: 0A8C0D46
	v_mul_f32_e32 v71, v71, v7                                 // 000000004B70: 0A8E0F47
	v_mul_f32_e32 v68, v68, v92                                // 000000004B74: 0A88B944
	v_mul_f32_e32 v69, v69, v93                                // 000000004B78: 0A8ABB45
	v_mul_f32_e32 v70, v70, v94                                // 000000004B7C: 0A8CBD46
	v_mul_f32_e32 v71, v71, v95                                // 000000004B80: 0A8EBF47
	v_pk_mul_f32 v[4:5], v[72:73], v[72:73]                    // 000000004B84: D3B14004 18029148
	v_pk_mul_f32 v[6:7], v[74:75], v[74:75]                    // 000000004B8C: D3B14006 1802954A
	v_pk_fma_f32 v[4:5], v[4:5], s[78:79], v[8:9]              // 000000004B94: D3B04004 1C209D04
	v_pk_fma_f32 v[6:7], v[6:7], s[78:79], v[8:9]              // 000000004B9C: D3B04006 1C209D06
	v_pk_mul_f32 v[4:5], v[4:5], v[72:73]                      // 000000004BA4: D3B14004 18029104
	v_pk_mul_f32 v[6:7], v[6:7], v[74:75]                      // 000000004BAC: D3B14006 18029506
	v_pk_mul_f32 v[4:5], v[4:5], s[60:61]                      // 000000004BB4: D3B14004 18007904
	v_pk_mul_f32 v[6:7], v[6:7], s[60:61]                      // 000000004BBC: D3B14006 18007906
	v_exp_f32_e32 v4, v4                                       // 000000004BC4: 7E084104
	v_exp_f32_e32 v5, v5                                       // 000000004BC8: 7E0A4105
	v_exp_f32_e32 v6, v6                                       // 000000004BCC: 7E0C4106
	v_exp_f32_e32 v7, v7                                       // 000000004BD0: 7E0E4107
	v_add_f32_e64 v4, v4, 1.0                                  // 000000004BD4: D1010004 0001E504
	v_add_f32_e64 v5, v5, 1.0                                  // 000000004BDC: D1010005 0001E505
	v_add_f32_e64 v6, v6, 1.0                                  // 000000004BE4: D1010006 0001E506
	v_add_f32_e64 v7, v7, 1.0                                  // 000000004BEC: D1010007 0001E507
	v_rcp_f32_e32 v4, v4                                       // 000000004BF4: 7E084504
	v_rcp_f32_e32 v5, v5                                       // 000000004BF8: 7E0A4505
	v_rcp_f32_e32 v6, v6                                       // 000000004BFC: 7E0C4506
	v_rcp_f32_e32 v7, v7                                       // 000000004C00: 7E0E4507
	v_mul_f32_e32 v72, v72, v4                                 // 000000004C04: 0A900948
	v_mul_f32_e32 v73, v73, v5                                 // 000000004C08: 0A920B49
	v_mul_f32_e32 v74, v74, v6                                 // 000000004C0C: 0A940D4A
	v_mul_f32_e32 v75, v75, v7                                 // 000000004C10: 0A960F4B
	v_mul_f32_e32 v72, v72, v96                                // 000000004C14: 0A90C148
	v_mul_f32_e32 v73, v73, v97                                // 000000004C18: 0A92C349
	v_mul_f32_e32 v74, v74, v98                                // 000000004C1C: 0A94C54A
	v_mul_f32_e32 v75, v75, v99                                // 000000004C20: 0A96C74B
	v_pk_mul_f32 v[4:5], v[76:77], v[76:77]                    // 000000004C24: D3B14004 1802994C
	v_pk_mul_f32 v[6:7], v[78:79], v[78:79]                    // 000000004C2C: D3B14006 18029D4E
	v_pk_fma_f32 v[4:5], v[4:5], s[78:79], v[8:9]              // 000000004C34: D3B04004 1C209D04
	v_pk_fma_f32 v[6:7], v[6:7], s[78:79], v[8:9]              // 000000004C3C: D3B04006 1C209D06
	v_pk_mul_f32 v[4:5], v[4:5], v[76:77]                      // 000000004C44: D3B14004 18029904
	v_pk_mul_f32 v[6:7], v[6:7], v[78:79]                      // 000000004C4C: D3B14006 18029D06
	v_pk_mul_f32 v[4:5], v[4:5], s[60:61]                      // 000000004C54: D3B14004 18007904
	v_pk_mul_f32 v[6:7], v[6:7], s[60:61]                      // 000000004C5C: D3B14006 18007906
	v_exp_f32_e32 v4, v4                                       // 000000004C64: 7E084104
	v_exp_f32_e32 v5, v5                                       // 000000004C68: 7E0A4105
	v_exp_f32_e32 v6, v6                                       // 000000004C6C: 7E0C4106
	v_exp_f32_e32 v7, v7                                       // 000000004C70: 7E0E4107
	v_add_f32_e64 v4, v4, 1.0                                  // 000000004C74: D1010004 0001E504
	v_add_f32_e64 v5, v5, 1.0                                  // 000000004C7C: D1010005 0001E505
	v_add_f32_e64 v6, v6, 1.0                                  // 000000004C84: D1010006 0001E506
	v_add_f32_e64 v7, v7, 1.0                                  // 000000004C8C: D1010007 0001E507
	v_rcp_f32_e32 v4, v4                                       // 000000004C94: 7E084504
	v_rcp_f32_e32 v5, v5                                       // 000000004C98: 7E0A4505
	v_rcp_f32_e32 v6, v6                                       // 000000004C9C: 7E0C4506
	v_rcp_f32_e32 v7, v7                                       // 000000004CA0: 7E0E4507
	v_mul_f32_e32 v76, v76, v4                                 // 000000004CA4: 0A98094C
	v_mul_f32_e32 v77, v77, v5                                 // 000000004CA8: 0A9A0B4D
	v_mul_f32_e32 v78, v78, v6                                 // 000000004CAC: 0A9C0D4E
	v_mul_f32_e32 v79, v79, v7                                 // 000000004CB0: 0A9E0F4F
	v_mul_f32_e32 v76, v76, v100                               // 000000004CB4: 0A98C94C
	v_mul_f32_e32 v77, v77, v101                               // 000000004CB8: 0A9ACB4D
	v_mul_f32_e32 v78, v78, v102                               // 000000004CBC: 0A9CCD4E
	v_mul_f32_e32 v79, v79, v103                               // 000000004CC0: 0A9ECF4F
	v_pk_mul_f32 v[4:5], v[80:81], v[80:81]                    // 000000004CC4: D3B14004 1802A150
	v_pk_mul_f32 v[6:7], v[82:83], v[82:83]                    // 000000004CCC: D3B14006 1802A552
	v_pk_fma_f32 v[4:5], v[4:5], s[78:79], v[8:9]              // 000000004CD4: D3B04004 1C209D04
	v_pk_fma_f32 v[6:7], v[6:7], s[78:79], v[8:9]              // 000000004CDC: D3B04006 1C209D06
	v_pk_mul_f32 v[4:5], v[4:5], v[80:81]                      // 000000004CE4: D3B14004 1802A104
	v_pk_mul_f32 v[6:7], v[6:7], v[82:83]                      // 000000004CEC: D3B14006 1802A506
	v_pk_mul_f32 v[4:5], v[4:5], s[60:61]                      // 000000004CF4: D3B14004 18007904
	v_pk_mul_f32 v[6:7], v[6:7], s[60:61]                      // 000000004CFC: D3B14006 18007906
	v_exp_f32_e32 v4, v4                                       // 000000004D04: 7E084104
	v_exp_f32_e32 v5, v5                                       // 000000004D08: 7E0A4105
	v_exp_f32_e32 v6, v6                                       // 000000004D0C: 7E0C4106
	v_exp_f32_e32 v7, v7                                       // 000000004D10: 7E0E4107
	v_add_f32_e64 v4, v4, 1.0                                  // 000000004D14: D1010004 0001E504
	v_add_f32_e64 v5, v5, 1.0                                  // 000000004D1C: D1010005 0001E505
	v_add_f32_e64 v6, v6, 1.0                                  // 000000004D24: D1010006 0001E506
	v_add_f32_e64 v7, v7, 1.0                                  // 000000004D2C: D1010007 0001E507
	v_rcp_f32_e32 v4, v4                                       // 000000004D34: 7E084504
	v_rcp_f32_e32 v5, v5                                       // 000000004D38: 7E0A4505
	v_rcp_f32_e32 v6, v6                                       // 000000004D3C: 7E0C4506
	v_rcp_f32_e32 v7, v7                                       // 000000004D40: 7E0E4507
	v_mul_f32_e32 v80, v80, v4                                 // 000000004D44: 0AA00950
	v_mul_f32_e32 v81, v81, v5                                 // 000000004D48: 0AA20B51
	v_mul_f32_e32 v82, v82, v6                                 // 000000004D4C: 0AA40D52
	v_mul_f32_e32 v83, v83, v7                                 // 000000004D50: 0AA60F53
	v_mul_f32_e32 v80, v80, v104                               // 000000004D54: 0AA0D150
	v_mul_f32_e32 v81, v81, v105                               // 000000004D58: 0AA2D351
	v_mul_f32_e32 v82, v82, v106                               // 000000004D5C: 0AA4D552
	v_mul_f32_e32 v83, v83, v107                               // 000000004D60: 0AA6D753
	v_pk_mul_f32 v[4:5], v[84:85], v[84:85]                    // 000000004D64: D3B14004 1802A954
	v_pk_mul_f32 v[6:7], v[86:87], v[86:87]                    // 000000004D6C: D3B14006 1802AD56
	v_pk_fma_f32 v[4:5], v[4:5], s[78:79], v[8:9]              // 000000004D74: D3B04004 1C209D04
	v_pk_fma_f32 v[6:7], v[6:7], s[78:79], v[8:9]              // 000000004D7C: D3B04006 1C209D06
	v_pk_mul_f32 v[4:5], v[4:5], v[84:85]                      // 000000004D84: D3B14004 1802A904
	v_pk_mul_f32 v[6:7], v[6:7], v[86:87]                      // 000000004D8C: D3B14006 1802AD06
	v_pk_mul_f32 v[4:5], v[4:5], s[60:61]                      // 000000004D94: D3B14004 18007904
	v_pk_mul_f32 v[6:7], v[6:7], s[60:61]                      // 000000004D9C: D3B14006 18007906
	v_exp_f32_e32 v4, v4                                       // 000000004DA4: 7E084104
	v_exp_f32_e32 v5, v5                                       // 000000004DA8: 7E0A4105
	v_exp_f32_e32 v6, v6                                       // 000000004DAC: 7E0C4106
	v_exp_f32_e32 v7, v7                                       // 000000004DB0: 7E0E4107
	v_add_f32_e64 v4, v4, 1.0                                  // 000000004DB4: D1010004 0001E504
	v_add_f32_e64 v5, v5, 1.0                                  // 000000004DBC: D1010005 0001E505
	v_add_f32_e64 v6, v6, 1.0                                  // 000000004DC4: D1010006 0001E506
	v_add_f32_e64 v7, v7, 1.0                                  // 000000004DCC: D1010007 0001E507
	v_rcp_f32_e32 v4, v4                                       // 000000004DD4: 7E084504
	v_rcp_f32_e32 v5, v5                                       // 000000004DD8: 7E0A4505
	v_rcp_f32_e32 v6, v6                                       // 000000004DDC: 7E0C4506
	v_rcp_f32_e32 v7, v7                                       // 000000004DE0: 7E0E4507
	v_mul_f32_e32 v84, v84, v4                                 // 000000004DE4: 0AA80954
	v_mul_f32_e32 v85, v85, v5                                 // 000000004DE8: 0AAA0B55
	v_mul_f32_e32 v86, v86, v6                                 // 000000004DEC: 0AAC0D56
	v_mul_f32_e32 v87, v87, v7                                 // 000000004DF0: 0AAE0F57
	v_mul_f32_e32 v84, v84, v108                               // 000000004DF4: 0AA8D954
	v_mul_f32_e32 v85, v85, v109                               // 000000004DF8: 0AAADB55
	v_mul_f32_e32 v86, v86, v110                               // 000000004DFC: 0AACDD56
	v_mul_f32_e32 v87, v87, v111                               // 000000004E00: 0AAEDF57
	v_pk_mul_f32 v[4:5], v[88:89], v[88:89]                    // 000000004E04: D3B14004 1802B158
	v_pk_mul_f32 v[6:7], v[90:91], v[90:91]                    // 000000004E0C: D3B14006 1802B55A
	v_pk_fma_f32 v[4:5], v[4:5], s[78:79], v[8:9]              // 000000004E14: D3B04004 1C209D04
	v_pk_fma_f32 v[6:7], v[6:7], s[78:79], v[8:9]              // 000000004E1C: D3B04006 1C209D06
	v_pk_mul_f32 v[4:5], v[4:5], v[88:89]                      // 000000004E24: D3B14004 1802B104
	v_pk_mul_f32 v[6:7], v[6:7], v[90:91]                      // 000000004E2C: D3B14006 1802B506
	v_pk_mul_f32 v[4:5], v[4:5], s[60:61]                      // 000000004E34: D3B14004 18007904
	v_pk_mul_f32 v[6:7], v[6:7], s[60:61]                      // 000000004E3C: D3B14006 18007906
	v_exp_f32_e32 v4, v4                                       // 000000004E44: 7E084104
	v_exp_f32_e32 v5, v5                                       // 000000004E48: 7E0A4105
	v_exp_f32_e32 v6, v6                                       // 000000004E4C: 7E0C4106
	v_exp_f32_e32 v7, v7                                       // 000000004E50: 7E0E4107
	v_add_f32_e64 v4, v4, 1.0                                  // 000000004E54: D1010004 0001E504
	v_add_f32_e64 v5, v5, 1.0                                  // 000000004E5C: D1010005 0001E505
	v_add_f32_e64 v6, v6, 1.0                                  // 000000004E64: D1010006 0001E506
	v_add_f32_e64 v7, v7, 1.0                                  // 000000004E6C: D1010007 0001E507
	v_rcp_f32_e32 v4, v4                                       // 000000004E74: 7E084504
	v_rcp_f32_e32 v5, v5                                       // 000000004E78: 7E0A4505
	v_rcp_f32_e32 v6, v6                                       // 000000004E7C: 7E0C4506
	v_rcp_f32_e32 v7, v7                                       // 000000004E80: 7E0E4507
	v_mul_f32_e32 v88, v88, v4                                 // 000000004E84: 0AB00958
	v_mul_f32_e32 v89, v89, v5                                 // 000000004E88: 0AB20B59
	v_mul_f32_e32 v90, v90, v6                                 // 000000004E8C: 0AB40D5A
	v_mul_f32_e32 v91, v91, v7                                 // 000000004E90: 0AB60F5B
	v_mul_f32_e32 v88, v88, v112                               // 000000004E94: 0AB0E158
	v_mul_f32_e32 v89, v89, v113                               // 000000004E98: 0AB2E359
	v_mul_f32_e32 v90, v90, v114                               // 000000004E9C: 0AB4E55A
	v_mul_f32_e32 v91, v91, v115                               // 000000004EA0: 0AB6E75B
	s_branch label_09EA                                        // 000000004EA4: BF8200C0

0000000000004ea8 <label_092A>:
	v_mul_f32_e64 v4, -v68, s6                                 // 000000004EA8: D1050004 20000D44
	v_mul_f32_e64 v5, -v69, s6                                 // 000000004EB0: D1050005 20000D45
	v_mul_f32_e64 v6, -v70, s6                                 // 000000004EB8: D1050006 20000D46
	v_mul_f32_e64 v7, -v71, s6                                 // 000000004EC0: D1050007 20000D47
	v_exp_f32_e32 v4, v4                                       // 000000004EC8: 7E084104
	v_exp_f32_e32 v5, v5                                       // 000000004ECC: 7E0A4105
	v_exp_f32_e32 v6, v6                                       // 000000004ED0: 7E0C4106
	v_exp_f32_e32 v7, v7                                       // 000000004ED4: 7E0E4107
	v_add_f32_e64 v4, v4, 1.0                                  // 000000004ED8: D1010004 0001E504
	v_add_f32_e64 v5, v5, 1.0                                  // 000000004EE0: D1010005 0001E505
	v_add_f32_e64 v6, v6, 1.0                                  // 000000004EE8: D1010006 0001E506
	v_add_f32_e64 v7, v7, 1.0                                  // 000000004EF0: D1010007 0001E507
	v_rcp_f32_e32 v4, v4                                       // 000000004EF8: 7E084504
	v_rcp_f32_e32 v5, v5                                       // 000000004EFC: 7E0A4505
	v_rcp_f32_e32 v6, v6                                       // 000000004F00: 7E0C4506
	v_rcp_f32_e32 v7, v7                                       // 000000004F04: 7E0E4507
	v_mul_f32_e32 v68, v68, v4                                 // 000000004F08: 0A880944
	v_mul_f32_e32 v69, v69, v5                                 // 000000004F0C: 0A8A0B45
	v_mul_f32_e32 v70, v70, v6                                 // 000000004F10: 0A8C0D46
	v_mul_f32_e32 v71, v71, v7                                 // 000000004F14: 0A8E0F47
	v_mul_f32_e32 v68, v68, v92                                // 000000004F18: 0A88B944
	v_mul_f32_e32 v69, v69, v93                                // 000000004F1C: 0A8ABB45
	v_mul_f32_e32 v70, v70, v94                                // 000000004F20: 0A8CBD46
	v_mul_f32_e32 v71, v71, v95                                // 000000004F24: 0A8EBF47
	v_mul_f32_e64 v4, -v72, s6                                 // 000000004F28: D1050004 20000D48
	v_mul_f32_e64 v5, -v73, s6                                 // 000000004F30: D1050005 20000D49
	v_mul_f32_e64 v6, -v74, s6                                 // 000000004F38: D1050006 20000D4A
	v_mul_f32_e64 v7, -v75, s6                                 // 000000004F40: D1050007 20000D4B
	v_exp_f32_e32 v4, v4                                       // 000000004F48: 7E084104
	v_exp_f32_e32 v5, v5                                       // 000000004F4C: 7E0A4105
	v_exp_f32_e32 v6, v6                                       // 000000004F50: 7E0C4106
	v_exp_f32_e32 v7, v7                                       // 000000004F54: 7E0E4107
	v_add_f32_e64 v4, v4, 1.0                                  // 000000004F58: D1010004 0001E504
	v_add_f32_e64 v5, v5, 1.0                                  // 000000004F60: D1010005 0001E505
	v_add_f32_e64 v6, v6, 1.0                                  // 000000004F68: D1010006 0001E506
	v_add_f32_e64 v7, v7, 1.0                                  // 000000004F70: D1010007 0001E507
	v_rcp_f32_e32 v4, v4                                       // 000000004F78: 7E084504
	v_rcp_f32_e32 v5, v5                                       // 000000004F7C: 7E0A4505
	v_rcp_f32_e32 v6, v6                                       // 000000004F80: 7E0C4506
	v_rcp_f32_e32 v7, v7                                       // 000000004F84: 7E0E4507
	v_mul_f32_e32 v72, v72, v4                                 // 000000004F88: 0A900948
	v_mul_f32_e32 v73, v73, v5                                 // 000000004F8C: 0A920B49
	v_mul_f32_e32 v74, v74, v6                                 // 000000004F90: 0A940D4A
	v_mul_f32_e32 v75, v75, v7                                 // 000000004F94: 0A960F4B
	v_mul_f32_e32 v72, v72, v96                                // 000000004F98: 0A90C148
	v_mul_f32_e32 v73, v73, v97                                // 000000004F9C: 0A92C349
	v_mul_f32_e32 v74, v74, v98                                // 000000004FA0: 0A94C54A
	v_mul_f32_e32 v75, v75, v99                                // 000000004FA4: 0A96C74B
	v_mul_f32_e64 v4, -v76, s6                                 // 000000004FA8: D1050004 20000D4C
	v_mul_f32_e64 v5, -v77, s6                                 // 000000004FB0: D1050005 20000D4D
	v_mul_f32_e64 v6, -v78, s6                                 // 000000004FB8: D1050006 20000D4E
	v_mul_f32_e64 v7, -v79, s6                                 // 000000004FC0: D1050007 20000D4F
	v_exp_f32_e32 v4, v4                                       // 000000004FC8: 7E084104
	v_exp_f32_e32 v5, v5                                       // 000000004FCC: 7E0A4105
	v_exp_f32_e32 v6, v6                                       // 000000004FD0: 7E0C4106
	v_exp_f32_e32 v7, v7                                       // 000000004FD4: 7E0E4107
	v_add_f32_e64 v4, v4, 1.0                                  // 000000004FD8: D1010004 0001E504
	v_add_f32_e64 v5, v5, 1.0                                  // 000000004FE0: D1010005 0001E505
	v_add_f32_e64 v6, v6, 1.0                                  // 000000004FE8: D1010006 0001E506
	v_add_f32_e64 v7, v7, 1.0                                  // 000000004FF0: D1010007 0001E507
	v_rcp_f32_e32 v4, v4                                       // 000000004FF8: 7E084504
	v_rcp_f32_e32 v5, v5                                       // 000000004FFC: 7E0A4505
	v_rcp_f32_e32 v6, v6                                       // 000000005000: 7E0C4506
	v_rcp_f32_e32 v7, v7                                       // 000000005004: 7E0E4507
	v_mul_f32_e32 v76, v76, v4                                 // 000000005008: 0A98094C
	v_mul_f32_e32 v77, v77, v5                                 // 00000000500C: 0A9A0B4D
	v_mul_f32_e32 v78, v78, v6                                 // 000000005010: 0A9C0D4E
	v_mul_f32_e32 v79, v79, v7                                 // 000000005014: 0A9E0F4F
	v_mul_f32_e32 v76, v76, v100                               // 000000005018: 0A98C94C
	v_mul_f32_e32 v77, v77, v101                               // 00000000501C: 0A9ACB4D
	v_mul_f32_e32 v78, v78, v102                               // 000000005020: 0A9CCD4E
	v_mul_f32_e32 v79, v79, v103                               // 000000005024: 0A9ECF4F
	v_mul_f32_e64 v4, -v80, s6                                 // 000000005028: D1050004 20000D50
	v_mul_f32_e64 v5, -v81, s6                                 // 000000005030: D1050005 20000D51
	v_mul_f32_e64 v6, -v82, s6                                 // 000000005038: D1050006 20000D52
	v_mul_f32_e64 v7, -v83, s6                                 // 000000005040: D1050007 20000D53
	v_exp_f32_e32 v4, v4                                       // 000000005048: 7E084104
	v_exp_f32_e32 v5, v5                                       // 00000000504C: 7E0A4105
	v_exp_f32_e32 v6, v6                                       // 000000005050: 7E0C4106
	v_exp_f32_e32 v7, v7                                       // 000000005054: 7E0E4107
	v_add_f32_e64 v4, v4, 1.0                                  // 000000005058: D1010004 0001E504
	v_add_f32_e64 v5, v5, 1.0                                  // 000000005060: D1010005 0001E505
	v_add_f32_e64 v6, v6, 1.0                                  // 000000005068: D1010006 0001E506
	v_add_f32_e64 v7, v7, 1.0                                  // 000000005070: D1010007 0001E507
	v_rcp_f32_e32 v4, v4                                       // 000000005078: 7E084504
	v_rcp_f32_e32 v5, v5                                       // 00000000507C: 7E0A4505
	v_rcp_f32_e32 v6, v6                                       // 000000005080: 7E0C4506
	v_rcp_f32_e32 v7, v7                                       // 000000005084: 7E0E4507
	v_mul_f32_e32 v80, v80, v4                                 // 000000005088: 0AA00950
	v_mul_f32_e32 v81, v81, v5                                 // 00000000508C: 0AA20B51
	v_mul_f32_e32 v82, v82, v6                                 // 000000005090: 0AA40D52
	v_mul_f32_e32 v83, v83, v7                                 // 000000005094: 0AA60F53
	v_mul_f32_e32 v80, v80, v104                               // 000000005098: 0AA0D150
	v_mul_f32_e32 v81, v81, v105                               // 00000000509C: 0AA2D351
	v_mul_f32_e32 v82, v82, v106                               // 0000000050A0: 0AA4D552
	v_mul_f32_e32 v83, v83, v107                               // 0000000050A4: 0AA6D753
	v_mul_f32_e64 v4, -v84, s6                                 // 0000000050A8: D1050004 20000D54
	v_mul_f32_e64 v5, -v85, s6                                 // 0000000050B0: D1050005 20000D55
	v_mul_f32_e64 v6, -v86, s6                                 // 0000000050B8: D1050006 20000D56
	v_mul_f32_e64 v7, -v87, s6                                 // 0000000050C0: D1050007 20000D57
	v_exp_f32_e32 v4, v4                                       // 0000000050C8: 7E084104
	v_exp_f32_e32 v5, v5                                       // 0000000050CC: 7E0A4105
	v_exp_f32_e32 v6, v6                                       // 0000000050D0: 7E0C4106
	v_exp_f32_e32 v7, v7                                       // 0000000050D4: 7E0E4107
	v_add_f32_e64 v4, v4, 1.0                                  // 0000000050D8: D1010004 0001E504
	v_add_f32_e64 v5, v5, 1.0                                  // 0000000050E0: D1010005 0001E505
	v_add_f32_e64 v6, v6, 1.0                                  // 0000000050E8: D1010006 0001E506
	v_add_f32_e64 v7, v7, 1.0                                  // 0000000050F0: D1010007 0001E507
	v_rcp_f32_e32 v4, v4                                       // 0000000050F8: 7E084504
	v_rcp_f32_e32 v5, v5                                       // 0000000050FC: 7E0A4505
	v_rcp_f32_e32 v6, v6                                       // 000000005100: 7E0C4506
	v_rcp_f32_e32 v7, v7                                       // 000000005104: 7E0E4507
	v_mul_f32_e32 v84, v84, v4                                 // 000000005108: 0AA80954
	v_mul_f32_e32 v85, v85, v5                                 // 00000000510C: 0AAA0B55
	v_mul_f32_e32 v86, v86, v6                                 // 000000005110: 0AAC0D56
	v_mul_f32_e32 v87, v87, v7                                 // 000000005114: 0AAE0F57
	v_mul_f32_e32 v84, v84, v108                               // 000000005118: 0AA8D954
	v_mul_f32_e32 v85, v85, v109                               // 00000000511C: 0AAADB55
	v_mul_f32_e32 v86, v86, v110                               // 000000005120: 0AACDD56
	v_mul_f32_e32 v87, v87, v111                               // 000000005124: 0AAEDF57
	v_mul_f32_e64 v4, -v88, s6                                 // 000000005128: D1050004 20000D58
	v_mul_f32_e64 v5, -v89, s6                                 // 000000005130: D1050005 20000D59
	v_mul_f32_e64 v6, -v90, s6                                 // 000000005138: D1050006 20000D5A
	v_mul_f32_e64 v7, -v91, s6                                 // 000000005140: D1050007 20000D5B
	v_exp_f32_e32 v4, v4                                       // 000000005148: 7E084104
	v_exp_f32_e32 v5, v5                                       // 00000000514C: 7E0A4105
	v_exp_f32_e32 v6, v6                                       // 000000005150: 7E0C4106
	v_exp_f32_e32 v7, v7                                       // 000000005154: 7E0E4107
	v_add_f32_e64 v4, v4, 1.0                                  // 000000005158: D1010004 0001E504
	v_add_f32_e64 v5, v5, 1.0                                  // 000000005160: D1010005 0001E505
	v_add_f32_e64 v6, v6, 1.0                                  // 000000005168: D1010006 0001E506
	v_add_f32_e64 v7, v7, 1.0                                  // 000000005170: D1010007 0001E507
	v_rcp_f32_e32 v4, v4                                       // 000000005178: 7E084504
	v_rcp_f32_e32 v5, v5                                       // 00000000517C: 7E0A4505
	v_rcp_f32_e32 v6, v6                                       // 000000005180: 7E0C4506
	v_rcp_f32_e32 v7, v7                                       // 000000005184: 7E0E4507
	v_mul_f32_e32 v88, v88, v4                                 // 000000005188: 0AB00958
	v_mul_f32_e32 v89, v89, v5                                 // 00000000518C: 0AB20B59
	v_mul_f32_e32 v90, v90, v6                                 // 000000005190: 0AB40D5A
	v_mul_f32_e32 v91, v91, v7                                 // 000000005194: 0AB60F5B
	v_mul_f32_e32 v88, v88, v112                               // 000000005198: 0AB0E158
	v_mul_f32_e32 v89, v89, v113                               // 00000000519C: 0AB2E359
	v_mul_f32_e32 v90, v90, v114                               // 0000000051A0: 0AB4E55A
	v_mul_f32_e32 v91, v91, v115                               // 0000000051A4: 0AB6E75B

00000000000051a8 <label_09EA>:
	v_cmp_u_f32_e64 s[46:47], v68, v68                         // 0000000051A8: D048002E 00028944
	v_add3_u32 v16, v68, v19, 1                                // 0000000051B0: D1FF0010 02062744
	v_cndmask_b32_e64 v4, v16, v18, s[46:47]                   // 0000000051B8: D1000004 00BA2510
	v_cmp_u_f32_e64 s[46:47], v69, v69                         // 0000000051C0: D048002E 00028B45
	v_add3_u32 v16, v69, v19, 1                                // 0000000051C8: D1FF0010 02062745
	v_cndmask_b32_e64 v5, v16, v18, s[46:47]                   // 0000000051D0: D1000005 00BA2510
	v_perm_b32 v68, v5, v4, s52                                // 0000000051D8: D1ED0044 00D20905
	v_cmp_u_f32_e64 s[46:47], v70, v70                         // 0000000051E0: D048002E 00028D46
	v_add3_u32 v16, v70, v19, 1                                // 0000000051E8: D1FF0010 02062746
	v_cndmask_b32_e64 v4, v16, v18, s[46:47]                   // 0000000051F0: D1000004 00BA2510
	v_cmp_u_f32_e64 s[46:47], v71, v71                         // 0000000051F8: D048002E 00028F47
	v_add3_u32 v16, v71, v19, 1                                // 000000005200: D1FF0010 02062747
	v_cndmask_b32_e64 v5, v16, v18, s[46:47]                   // 000000005208: D1000005 00BA2510
	v_perm_b32 v69, v5, v4, s52                                // 000000005210: D1ED0045 00D20905
	v_cmp_u_f32_e64 s[46:47], v72, v72                         // 000000005218: D048002E 00029148
	v_add3_u32 v16, v72, v19, 1                                // 000000005220: D1FF0010 02062748
	v_cndmask_b32_e64 v4, v16, v18, s[46:47]                   // 000000005228: D1000004 00BA2510
	v_cmp_u_f32_e64 s[46:47], v73, v73                         // 000000005230: D048002E 00029349
	v_add3_u32 v16, v73, v19, 1                                // 000000005238: D1FF0010 02062749
	v_cndmask_b32_e64 v5, v16, v18, s[46:47]                   // 000000005240: D1000005 00BA2510
	v_perm_b32 v70, v5, v4, s52                                // 000000005248: D1ED0046 00D20905
	v_cmp_u_f32_e64 s[46:47], v74, v74                         // 000000005250: D048002E 0002954A
	v_add3_u32 v16, v74, v19, 1                                // 000000005258: D1FF0010 0206274A
	v_cndmask_b32_e64 v4, v16, v18, s[46:47]                   // 000000005260: D1000004 00BA2510
	v_cmp_u_f32_e64 s[46:47], v75, v75                         // 000000005268: D048002E 0002974B
	v_add3_u32 v16, v75, v19, 1                                // 000000005270: D1FF0010 0206274B
	v_cndmask_b32_e64 v5, v16, v18, s[46:47]                   // 000000005278: D1000005 00BA2510
	v_perm_b32 v71, v5, v4, s52                                // 000000005280: D1ED0047 00D20905
	v_cmp_u_f32_e64 s[46:47], v76, v76                         // 000000005288: D048002E 0002994C
	v_add3_u32 v16, v76, v19, 1                                // 000000005290: D1FF0010 0206274C
	v_cndmask_b32_e64 v4, v16, v18, s[46:47]                   // 000000005298: D1000004 00BA2510
	v_cmp_u_f32_e64 s[46:47], v77, v77                         // 0000000052A0: D048002E 00029B4D
	v_add3_u32 v16, v77, v19, 1                                // 0000000052A8: D1FF0010 0206274D
	v_cndmask_b32_e64 v5, v16, v18, s[46:47]                   // 0000000052B0: D1000005 00BA2510
	v_perm_b32 v72, v5, v4, s52                                // 0000000052B8: D1ED0048 00D20905
	v_cmp_u_f32_e64 s[46:47], v78, v78                         // 0000000052C0: D048002E 00029D4E
	v_add3_u32 v16, v78, v19, 1                                // 0000000052C8: D1FF0010 0206274E
	v_cndmask_b32_e64 v4, v16, v18, s[46:47]                   // 0000000052D0: D1000004 00BA2510
	v_cmp_u_f32_e64 s[46:47], v79, v79                         // 0000000052D8: D048002E 00029F4F
	v_add3_u32 v16, v79, v19, 1                                // 0000000052E0: D1FF0010 0206274F
	v_cndmask_b32_e64 v5, v16, v18, s[46:47]                   // 0000000052E8: D1000005 00BA2510
	v_perm_b32 v73, v5, v4, s52                                // 0000000052F0: D1ED0049 00D20905
	v_cmp_u_f32_e64 s[46:47], v80, v80                         // 0000000052F8: D048002E 0002A150
	v_add3_u32 v16, v80, v19, 1                                // 000000005300: D1FF0010 02062750
	v_cndmask_b32_e64 v4, v16, v18, s[46:47]                   // 000000005308: D1000004 00BA2510
	v_cmp_u_f32_e64 s[46:47], v81, v81                         // 000000005310: D048002E 0002A351
	v_add3_u32 v16, v81, v19, 1                                // 000000005318: D1FF0010 02062751
	v_cndmask_b32_e64 v5, v16, v18, s[46:47]                   // 000000005320: D1000005 00BA2510
	v_perm_b32 v74, v5, v4, s52                                // 000000005328: D1ED004A 00D20905
	v_cmp_u_f32_e64 s[46:47], v82, v82                         // 000000005330: D048002E 0002A552
	v_add3_u32 v16, v82, v19, 1                                // 000000005338: D1FF0010 02062752
	v_cndmask_b32_e64 v4, v16, v18, s[46:47]                   // 000000005340: D1000004 00BA2510
	v_cmp_u_f32_e64 s[46:47], v83, v83                         // 000000005348: D048002E 0002A753
	v_add3_u32 v16, v83, v19, 1                                // 000000005350: D1FF0010 02062753
	v_cndmask_b32_e64 v5, v16, v18, s[46:47]                   // 000000005358: D1000005 00BA2510
	v_perm_b32 v75, v5, v4, s52                                // 000000005360: D1ED004B 00D20905
	v_cmp_u_f32_e64 s[46:47], v84, v84                         // 000000005368: D048002E 0002A954
	v_add3_u32 v16, v84, v19, 1                                // 000000005370: D1FF0010 02062754
	v_cndmask_b32_e64 v4, v16, v18, s[46:47]                   // 000000005378: D1000004 00BA2510
	v_cmp_u_f32_e64 s[46:47], v85, v85                         // 000000005380: D048002E 0002AB55
	v_add3_u32 v16, v85, v19, 1                                // 000000005388: D1FF0010 02062755
	v_cndmask_b32_e64 v5, v16, v18, s[46:47]                   // 000000005390: D1000005 00BA2510
	v_perm_b32 v76, v5, v4, s52                                // 000000005398: D1ED004C 00D20905
	v_cmp_u_f32_e64 s[46:47], v86, v86                         // 0000000053A0: D048002E 0002AD56
	v_add3_u32 v16, v86, v19, 1                                // 0000000053A8: D1FF0010 02062756
	v_cndmask_b32_e64 v4, v16, v18, s[46:47]                   // 0000000053B0: D1000004 00BA2510
	v_cmp_u_f32_e64 s[46:47], v87, v87                         // 0000000053B8: D048002E 0002AF57
	v_add3_u32 v16, v87, v19, 1                                // 0000000053C0: D1FF0010 02062757
	v_cndmask_b32_e64 v5, v16, v18, s[46:47]                   // 0000000053C8: D1000005 00BA2510
	v_perm_b32 v77, v5, v4, s52                                // 0000000053D0: D1ED004D 00D20905
	v_cmp_u_f32_e64 s[46:47], v88, v88                         // 0000000053D8: D048002E 0002B158
	v_add3_u32 v16, v88, v19, 1                                // 0000000053E0: D1FF0010 02062758
	v_cndmask_b32_e64 v4, v16, v18, s[46:47]                   // 0000000053E8: D1000004 00BA2510
	v_cmp_u_f32_e64 s[46:47], v89, v89                         // 0000000053F0: D048002E 0002B359
	v_add3_u32 v16, v89, v19, 1                                // 0000000053F8: D1FF0010 02062759
	v_cndmask_b32_e64 v5, v16, v18, s[46:47]                   // 000000005400: D1000005 00BA2510
	v_perm_b32 v78, v5, v4, s52                                // 000000005408: D1ED004E 00D20905
	v_cmp_u_f32_e64 s[46:47], v90, v90                         // 000000005410: D048002E 0002B55A
	v_add3_u32 v16, v90, v19, 1                                // 000000005418: D1FF0010 0206275A
	v_cndmask_b32_e64 v4, v16, v18, s[46:47]                   // 000000005420: D1000004 00BA2510
	v_cmp_u_f32_e64 s[46:47], v91, v91                         // 000000005428: D048002E 0002B75B
	v_add3_u32 v16, v91, v19, 1                                // 000000005430: D1FF0010 0206275B
	v_cndmask_b32_e64 v5, v16, v18, s[46:47]                   // 000000005438: D1000005 00BA2510
	v_perm_b32 v79, v5, v4, s52                                // 000000005440: D1ED004F 00D20905
	ds_write_b64 v20, v[68:69]                                 // 000000005448: D89A0000 00004414
	ds_write_b64 v20, v[70:71] offset:2176                     // 000000005450: D89A0880 00004614
	ds_write_b64 v20, v[72:73] offset:4352                     // 000000005458: D89A1100 00004814
	ds_write_b64 v20, v[74:75] offset:6528                     // 000000005460: D89A1980 00004A14
	ds_write_b64 v20, v[76:77] offset:8704                     // 000000005468: D89A2200 00004C14
	ds_write_b64 v20, v[78:79] offset:10880                    // 000000005470: D89A2A80 00004E14
	v_lshrrev_b32_e32 v4, 5, v0                                // 000000005478: 20080085
	v_xor_b32_e32 v5, 1, v4                                    // 00000000547C: 2A0A0881
	s_mul_i32 s60, s65, 2                                      // 000000005480: 923C8241
	s_cmp_eq_u32 s88, 0                                        // 000000005484: BF068058
	s_cselect_b32 s61, 1, 4                                    // 000000005488: 853D8481
	s_mul_i32 s60, s61, s60                                    // 00000000548C: 923C3C3D
	v_readlane_b32 s82, v3, 0                                  // 000000005490: D2890052 00010103
	s_lshr_b32 s61, s82, 24                                    // 000000005498: 8F3D9852
	s_and_b32 s82, s82, 0xffffff                               // 00000000549C: 8652FF52 00FFFFFF
	s_mul_i32 s82, s82, s71                                    // 0000000054A4: 92524752
	s_mul_i32 s61, s60, s61                                    // 0000000054A8: 923D3D3C
	s_add_u32 s82, s82, s61                                    // 0000000054AC: 80523D52
	v_mul_lo_u32 v6, v5, s82                                   // 0000000054B0: D2850006 0000A505
	v_readlane_b32 s82, v3, 1                                  // 0000000054B8: D2890052 00010303
	s_lshr_b32 s61, s82, 24                                    // 0000000054C0: 8F3D9852
	s_and_b32 s82, s82, 0xffffff                               // 0000000054C4: 8652FF52 00FFFFFF
	s_mul_i32 s82, s82, s71                                    // 0000000054CC: 92524752
	s_mul_i32 s61, s60, s61                                    // 0000000054D0: 923D3D3C
	s_add_u32 s82, s82, s61                                    // 0000000054D4: 80523D52
	v_mul_lo_u32 v7, v4, s82                                   // 0000000054D8: D2850007 0000A504
	v_add_u32_e32 v54, v6, v7                                  // 0000000054E0: 686C0F06
	v_readlane_b32 s82, v3, 2                                  // 0000000054E4: D2890052 00010503
	s_lshr_b32 s61, s82, 24                                    // 0000000054EC: 8F3D9852
	s_and_b32 s82, s82, 0xffffff                               // 0000000054F0: 8652FF52 00FFFFFF
	s_mul_i32 s82, s82, s71                                    // 0000000054F8: 92524752
	s_mul_i32 s61, s60, s61                                    // 0000000054FC: 923D3D3C
	s_add_u32 s82, s82, s61                                    // 000000005500: 80523D52
	v_mul_lo_u32 v6, v5, s82                                   // 000000005504: D2850006 0000A505
	v_readlane_b32 s82, v3, 3                                  // 00000000550C: D2890052 00010703
	s_lshr_b32 s61, s82, 24                                    // 000000005514: 8F3D9852
	s_and_b32 s82, s82, 0xffffff                               // 000000005518: 8652FF52 00FFFFFF
	s_mul_i32 s82, s82, s71                                    // 000000005520: 92524752
	s_mul_i32 s61, s60, s61                                    // 000000005524: 923D3D3C
	s_add_u32 s82, s82, s61                                    // 000000005528: 80523D52
	v_mul_lo_u32 v7, v4, s82                                   // 00000000552C: D2850007 0000A504
	v_add_u32_e32 v55, v6, v7                                  // 000000005534: 686E0F06
	v_readlane_b32 s82, v3, 4                                  // 000000005538: D2890052 00010903
	s_lshr_b32 s61, s82, 24                                    // 000000005540: 8F3D9852
	s_and_b32 s82, s82, 0xffffff                               // 000000005544: 8652FF52 00FFFFFF
	s_mul_i32 s82, s82, s71                                    // 00000000554C: 92524752
	s_mul_i32 s61, s60, s61                                    // 000000005550: 923D3D3C
	s_add_u32 s82, s82, s61                                    // 000000005554: 80523D52
	v_mul_lo_u32 v6, v5, s82                                   // 000000005558: D2850006 0000A505
	v_readlane_b32 s82, v3, 5                                  // 000000005560: D2890052 00010B03
	s_lshr_b32 s61, s82, 24                                    // 000000005568: 8F3D9852
	s_and_b32 s82, s82, 0xffffff                               // 00000000556C: 8652FF52 00FFFFFF
	s_mul_i32 s82, s82, s71                                    // 000000005574: 92524752
	s_mul_i32 s61, s60, s61                                    // 000000005578: 923D3D3C
	s_add_u32 s82, s82, s61                                    // 00000000557C: 80523D52
	v_mul_lo_u32 v7, v4, s82                                   // 000000005580: D2850007 0000A504
	v_add_u32_e32 v56, v6, v7                                  // 000000005588: 68700F06
	v_readlane_b32 s82, v3, 6                                  // 00000000558C: D2890052 00010D03
	s_lshr_b32 s61, s82, 24                                    // 000000005594: 8F3D9852
	s_and_b32 s82, s82, 0xffffff                               // 000000005598: 8652FF52 00FFFFFF
	s_mul_i32 s82, s82, s71                                    // 0000000055A0: 92524752
	s_mul_i32 s61, s60, s61                                    // 0000000055A4: 923D3D3C
	s_add_u32 s82, s82, s61                                    // 0000000055A8: 80523D52
	v_mul_lo_u32 v6, v5, s82                                   // 0000000055AC: D2850006 0000A505
	v_readlane_b32 s82, v3, 7                                  // 0000000055B4: D2890052 00010F03
	s_lshr_b32 s61, s82, 24                                    // 0000000055BC: 8F3D9852
	s_and_b32 s82, s82, 0xffffff                               // 0000000055C0: 8652FF52 00FFFFFF
	s_mul_i32 s82, s82, s71                                    // 0000000055C8: 92524752
	s_mul_i32 s61, s60, s61                                    // 0000000055CC: 923D3D3C
	s_add_u32 s82, s82, s61                                    // 0000000055D0: 80523D52
	v_mul_lo_u32 v7, v4, s82                                   // 0000000055D4: D2850007 0000A504
	v_add_u32_e32 v57, v6, v7                                  // 0000000055DC: 68720F06
	v_readlane_b32 s82, v3, 8                                  // 0000000055E0: D2890052 00011103
	s_lshr_b32 s61, s82, 24                                    // 0000000055E8: 8F3D9852
	s_and_b32 s82, s82, 0xffffff                               // 0000000055EC: 8652FF52 00FFFFFF
	s_mul_i32 s82, s82, s71                                    // 0000000055F4: 92524752
	s_mul_i32 s61, s60, s61                                    // 0000000055F8: 923D3D3C
	s_add_u32 s82, s82, s61                                    // 0000000055FC: 80523D52
	v_mul_lo_u32 v6, v5, s82                                   // 000000005600: D2850006 0000A505
	v_readlane_b32 s82, v3, 9                                  // 000000005608: D2890052 00011303
	s_lshr_b32 s61, s82, 24                                    // 000000005610: 8F3D9852
	s_and_b32 s82, s82, 0xffffff                               // 000000005614: 8652FF52 00FFFFFF
	s_mul_i32 s82, s82, s71                                    // 00000000561C: 92524752
	s_mul_i32 s61, s60, s61                                    // 000000005620: 923D3D3C
	s_add_u32 s82, s82, s61                                    // 000000005624: 80523D52
	v_mul_lo_u32 v7, v4, s82                                   // 000000005628: D2850007 0000A504
	v_add_u32_e32 v58, v6, v7                                  // 000000005630: 68740F06
	v_readlane_b32 s82, v3, 10                                 // 000000005634: D2890052 00011503
	s_lshr_b32 s61, s82, 24                                    // 00000000563C: 8F3D9852
	s_and_b32 s82, s82, 0xffffff                               // 000000005640: 8652FF52 00FFFFFF
	s_mul_i32 s82, s82, s71                                    // 000000005648: 92524752
	s_mul_i32 s61, s60, s61                                    // 00000000564C: 923D3D3C
	s_add_u32 s82, s82, s61                                    // 000000005650: 80523D52
	v_mul_lo_u32 v6, v5, s82                                   // 000000005654: D2850006 0000A505
	v_readlane_b32 s82, v3, 11                                 // 00000000565C: D2890052 00011703
	s_lshr_b32 s61, s82, 24                                    // 000000005664: 8F3D9852
	s_and_b32 s82, s82, 0xffffff                               // 000000005668: 8652FF52 00FFFFFF
	s_mul_i32 s82, s82, s71                                    // 000000005670: 92524752
	s_mul_i32 s61, s60, s61                                    // 000000005674: 923D3D3C
	s_add_u32 s82, s82, s61                                    // 000000005678: 80523D52
	v_mul_lo_u32 v7, v4, s82                                   // 00000000567C: D2850007 0000A504
	v_add_u32_e32 v59, v6, v7                                  // 000000005684: 68760F06
	v_readlane_b32 s82, v3, 12                                 // 000000005688: D2890052 00011903
	s_lshr_b32 s61, s82, 24                                    // 000000005690: 8F3D9852
	s_and_b32 s82, s82, 0xffffff                               // 000000005694: 8652FF52 00FFFFFF
	s_mul_i32 s82, s82, s71                                    // 00000000569C: 92524752
	s_mul_i32 s61, s60, s61                                    // 0000000056A0: 923D3D3C
	s_add_u32 s82, s82, s61                                    // 0000000056A4: 80523D52
	v_mul_lo_u32 v6, v5, s82                                   // 0000000056A8: D2850006 0000A505
	v_readlane_b32 s82, v3, 13                                 // 0000000056B0: D2890052 00011B03
	s_lshr_b32 s61, s82, 24                                    // 0000000056B8: 8F3D9852
	s_and_b32 s82, s82, 0xffffff                               // 0000000056BC: 8652FF52 00FFFFFF
	s_mul_i32 s82, s82, s71                                    // 0000000056C4: 92524752
	s_mul_i32 s61, s60, s61                                    // 0000000056C8: 923D3D3C
	s_add_u32 s82, s82, s61                                    // 0000000056CC: 80523D52
	v_mul_lo_u32 v7, v4, s82                                   // 0000000056D0: D2850007 0000A504
	v_add_u32_e32 v60, v6, v7                                  // 0000000056D8: 68780F06
	v_readlane_b32 s82, v3, 14                                 // 0000000056DC: D2890052 00011D03
	s_lshr_b32 s61, s82, 24                                    // 0000000056E4: 8F3D9852
	s_and_b32 s82, s82, 0xffffff                               // 0000000056E8: 8652FF52 00FFFFFF
	s_mul_i32 s82, s82, s71                                    // 0000000056F0: 92524752
	s_mul_i32 s61, s60, s61                                    // 0000000056F4: 923D3D3C
	s_add_u32 s82, s82, s61                                    // 0000000056F8: 80523D52
	v_mul_lo_u32 v6, v5, s82                                   // 0000000056FC: D2850006 0000A505
	v_readlane_b32 s82, v3, 15                                 // 000000005704: D2890052 00011F03
	s_lshr_b32 s61, s82, 24                                    // 00000000570C: 8F3D9852
	s_and_b32 s82, s82, 0xffffff                               // 000000005710: 8652FF52 00FFFFFF
	s_mul_i32 s82, s82, s71                                    // 000000005718: 92524752
	s_mul_i32 s61, s60, s61                                    // 00000000571C: 923D3D3C
	s_add_u32 s82, s82, s61                                    // 000000005720: 80523D52
	v_mul_lo_u32 v7, v4, s82                                   // 000000005724: D2850007 0000A504
	v_add_u32_e32 v61, v6, v7                                  // 00000000572C: 687A0F06
	v_readlane_b32 s82, v3, 16                                 // 000000005730: D2890052 00012103
	s_lshr_b32 s61, s82, 24                                    // 000000005738: 8F3D9852
	s_and_b32 s82, s82, 0xffffff                               // 00000000573C: 8652FF52 00FFFFFF
	s_mul_i32 s82, s82, s71                                    // 000000005744: 92524752
	s_mul_i32 s61, s60, s61                                    // 000000005748: 923D3D3C
	s_add_u32 s82, s82, s61                                    // 00000000574C: 80523D52
	v_mul_lo_u32 v6, v5, s82                                   // 000000005750: D2850006 0000A505
	v_readlane_b32 s82, v3, 17                                 // 000000005758: D2890052 00012303
	s_lshr_b32 s61, s82, 24                                    // 000000005760: 8F3D9852
	s_and_b32 s82, s82, 0xffffff                               // 000000005764: 8652FF52 00FFFFFF
	s_mul_i32 s82, s82, s71                                    // 00000000576C: 92524752
	s_mul_i32 s61, s60, s61                                    // 000000005770: 923D3D3C
	s_add_u32 s82, s82, s61                                    // 000000005774: 80523D52
	v_mul_lo_u32 v7, v4, s82                                   // 000000005778: D2850007 0000A504
	v_add_u32_e32 v62, v6, v7                                  // 000000005780: 687C0F06
	v_readlane_b32 s82, v3, 18                                 // 000000005784: D2890052 00012503
	s_lshr_b32 s61, s82, 24                                    // 00000000578C: 8F3D9852
	s_and_b32 s82, s82, 0xffffff                               // 000000005790: 8652FF52 00FFFFFF
	s_mul_i32 s82, s82, s71                                    // 000000005798: 92524752
	s_mul_i32 s61, s60, s61                                    // 00000000579C: 923D3D3C
	s_add_u32 s82, s82, s61                                    // 0000000057A0: 80523D52
	v_mul_lo_u32 v6, v5, s82                                   // 0000000057A4: D2850006 0000A505
	v_readlane_b32 s82, v3, 19                                 // 0000000057AC: D2890052 00012703
	s_lshr_b32 s61, s82, 24                                    // 0000000057B4: 8F3D9852
	s_and_b32 s82, s82, 0xffffff                               // 0000000057B8: 8652FF52 00FFFFFF
	s_mul_i32 s82, s82, s71                                    // 0000000057C0: 92524752
	s_mul_i32 s61, s60, s61                                    // 0000000057C4: 923D3D3C
	s_add_u32 s82, s82, s61                                    // 0000000057C8: 80523D52
	v_mul_lo_u32 v7, v4, s82                                   // 0000000057CC: D2850007 0000A504
	v_add_u32_e32 v63, v6, v7                                  // 0000000057D4: 687E0F06
	v_readlane_b32 s82, v3, 20                                 // 0000000057D8: D2890052 00012903
	s_lshr_b32 s61, s82, 24                                    // 0000000057E0: 8F3D9852
	s_and_b32 s82, s82, 0xffffff                               // 0000000057E4: 8652FF52 00FFFFFF
	s_mul_i32 s82, s82, s71                                    // 0000000057EC: 92524752
	s_mul_i32 s61, s60, s61                                    // 0000000057F0: 923D3D3C
	s_add_u32 s82, s82, s61                                    // 0000000057F4: 80523D52
	v_mul_lo_u32 v6, v5, s82                                   // 0000000057F8: D2850006 0000A505
	v_readlane_b32 s82, v3, 21                                 // 000000005800: D2890052 00012B03
	s_lshr_b32 s61, s82, 24                                    // 000000005808: 8F3D9852
	s_and_b32 s82, s82, 0xffffff                               // 00000000580C: 8652FF52 00FFFFFF
	s_mul_i32 s82, s82, s71                                    // 000000005814: 92524752
	s_mul_i32 s61, s60, s61                                    // 000000005818: 923D3D3C
	s_add_u32 s82, s82, s61                                    // 00000000581C: 80523D52
	v_mul_lo_u32 v7, v4, s82                                   // 000000005820: D2850007 0000A504
	v_add_u32_e32 v64, v6, v7                                  // 000000005828: 68800F06
	v_readlane_b32 s82, v3, 22                                 // 00000000582C: D2890052 00012D03
	s_lshr_b32 s61, s82, 24                                    // 000000005834: 8F3D9852
	s_and_b32 s82, s82, 0xffffff                               // 000000005838: 8652FF52 00FFFFFF
	s_mul_i32 s82, s82, s71                                    // 000000005840: 92524752
	s_mul_i32 s61, s60, s61                                    // 000000005844: 923D3D3C
	s_add_u32 s82, s82, s61                                    // 000000005848: 80523D52
	v_mul_lo_u32 v6, v5, s82                                   // 00000000584C: D2850006 0000A505
	v_readlane_b32 s82, v3, 23                                 // 000000005854: D2890052 00012F03
	s_lshr_b32 s61, s82, 24                                    // 00000000585C: 8F3D9852
	s_and_b32 s82, s82, 0xffffff                               // 000000005860: 8652FF52 00FFFFFF
	s_mul_i32 s82, s82, s71                                    // 000000005868: 92524752
	s_mul_i32 s61, s60, s61                                    // 00000000586C: 923D3D3C
	s_add_u32 s82, s82, s61                                    // 000000005870: 80523D52
	v_mul_lo_u32 v7, v4, s82                                   // 000000005874: D2850007 0000A504
	v_add_u32_e32 v65, v6, v7                                  // 00000000587C: 68820F06
	v_and_b32_e32 v4, 31, v0                                   // 000000005880: 2608009F
	v_lshrrev_b32_e32 v4, 1, v4                                // 000000005884: 20080881
	s_cmp_eq_u32 s88, 0                                        // 000000005888: BF068058
	s_cselect_b32 s61, 2, 4                                    // 00000000588C: 853D8482
	v_mul_lo_u32 v4, v4, s61                                   // 000000005890: D2850004 00007B04
	v_and_b32_e64 v5, v0, 1                                    // 000000005898: D1130005 00010300
	v_add_u32_e32 v4, v4, v5                                   // 0000000058A0: 68080B04
	v_lshlrev_b32_e32 v4, 2, v4                                // 0000000058A4: 24080882
	v_add_u32_e32 v54, v54, v4                                 // 0000000058A8: 686C0936
	v_add_u32_e32 v55, v55, v4                                 // 0000000058AC: 686E0937
	v_add_u32_e32 v56, v56, v4                                 // 0000000058B0: 68700938
	v_add_u32_e32 v57, v57, v4                                 // 0000000058B4: 68720939
	v_add_u32_e32 v58, v58, v4                                 // 0000000058B8: 6874093A
	v_add_u32_e32 v59, v59, v4                                 // 0000000058BC: 6876093B
	v_add_u32_e32 v60, v60, v4                                 // 0000000058C0: 6878093C
	v_add_u32_e32 v61, v61, v4                                 // 0000000058C4: 687A093D
	v_add_u32_e32 v62, v62, v4                                 // 0000000058C8: 687C093E
	v_add_u32_e32 v63, v63, v4                                 // 0000000058CC: 687E093F
	v_add_u32_e32 v64, v64, v4                                 // 0000000058D0: 68800940
	v_add_u32_e32 v65, v65, v4                                 // 0000000058D4: 68820941
	s_waitcnt lgkmcnt(0)                                       // 0000000058D8: BF8CC07F
	s_barrier                                                  // 0000000058DC: BF8A0000
	ds_read_b32 v68, v21                                       // 0000000058E0: D86C0000 44000015
	ds_read_b32 v69, v21 offset:64                             // 0000000058E8: D86C0040 45000015
	ds_read_b32 v70, v21 offset:2176                           // 0000000058F0: D86C0880 46000015
	ds_read_b32 v71, v21 offset:2240                           // 0000000058F8: D86C08C0 47000015
	ds_read_b32 v72, v21 offset:4352                           // 000000005900: D86C1100 48000015
	ds_read_b32 v73, v21 offset:4416                           // 000000005908: D86C1140 49000015
	ds_read_b32 v74, v21 offset:6528                           // 000000005910: D86C1980 4A000015
	ds_read_b32 v75, v21 offset:6592                           // 000000005918: D86C19C0 4B000015
	ds_read_b32 v76, v21 offset:8704                           // 000000005920: D86C2200 4C000015
	ds_read_b32 v77, v21 offset:8768                           // 000000005928: D86C2240 4D000015
	ds_read_b32 v78, v21 offset:10880                          // 000000005930: D86C2A80 4E000015
	ds_read_b32 v79, v21 offset:10944                          // 000000005938: D86C2AC0 4F000015
	s_waitcnt lgkmcnt(0)                                       // 000000005940: BF8CC07F
	s_mov_b32 s36, -1                                          // 000000005944: BEA400C1
	s_mov_b32 s37, -1                                          // 000000005948: BEA500C1
	v_mov_b32_e32 v7, 0                                        // 00000000594C: 7E0E0280
	s_or_b32 s9, s9, 0x40000                                   // 000000005950: 8709FF09 00040000
	s_mov_b64 exec, s[36:37]                                   // 000000005958: BEFE0124
	v_mov_b32_e32 v6, v54                                      // 00000000595C: 7E0C0336
	s_mov_b64 s[60:61], 0                                      // 000000005960: BEBC0180
	v_readlane_b32 s82, v3, 0                                  // 000000005964: D2890052 00010103
	s_and_b32 s82, s82, 0xffffff                               // 00000000596C: 8652FF52 00FFFFFF
	s_cmp_lt_u32 s82, s66                                      // 000000005974: BF0A4252
	s_cselect_b32 s20, s36, s60                                // 000000005978: 85143C24
	v_readlane_b32 s82, v3, 1                                  // 00000000597C: D2890052 00010303
	s_and_b32 s82, s82, 0xffffff                               // 000000005984: 8652FF52 00FFFFFF
	s_cmp_lt_u32 s82, s66                                      // 00000000598C: BF0A4252
	s_cselect_b32 s21, s36, s60                                // 000000005990: 85153C24
	s_mov_b64 exec, s[20:21]                                   // 000000005994: BEFE0114
	buffer_store_dword v68, v6, s[8:11], 0 offen               // 000000005998: E0701000 80024406
	s_mov_b64 exec, s[36:37]                                   // 0000000059A0: BEFE0124
	v_mov_b32_e32 v6, v55                                      // 0000000059A4: 7E0C0337
	s_mov_b64 s[60:61], 0                                      // 0000000059A8: BEBC0180
	v_readlane_b32 s82, v3, 2                                  // 0000000059AC: D2890052 00010503
	s_and_b32 s82, s82, 0xffffff                               // 0000000059B4: 8652FF52 00FFFFFF
	s_cmp_lt_u32 s82, s66                                      // 0000000059BC: BF0A4252
	s_cselect_b32 s20, s36, s60                                // 0000000059C0: 85143C24
	v_readlane_b32 s82, v3, 3                                  // 0000000059C4: D2890052 00010703
	s_and_b32 s82, s82, 0xffffff                               // 0000000059CC: 8652FF52 00FFFFFF
	s_cmp_lt_u32 s82, s66                                      // 0000000059D4: BF0A4252
	s_cselect_b32 s21, s36, s60                                // 0000000059D8: 85153C24
	s_mov_b64 exec, s[20:21]                                   // 0000000059DC: BEFE0114
	buffer_store_dword v69, v6, s[8:11], 0 offen               // 0000000059E0: E0701000 80024506
	s_mov_b64 exec, s[36:37]                                   // 0000000059E8: BEFE0124
	v_mov_b32_e32 v6, v56                                      // 0000000059EC: 7E0C0338
	s_mov_b64 s[60:61], 0                                      // 0000000059F0: BEBC0180
	v_readlane_b32 s82, v3, 4                                  // 0000000059F4: D2890052 00010903
	s_and_b32 s82, s82, 0xffffff                               // 0000000059FC: 8652FF52 00FFFFFF
	s_cmp_lt_u32 s82, s66                                      // 000000005A04: BF0A4252
	s_cselect_b32 s20, s36, s60                                // 000000005A08: 85143C24
	v_readlane_b32 s82, v3, 5                                  // 000000005A0C: D2890052 00010B03
	s_and_b32 s82, s82, 0xffffff                               // 000000005A14: 8652FF52 00FFFFFF
	s_cmp_lt_u32 s82, s66                                      // 000000005A1C: BF0A4252
	s_cselect_b32 s21, s36, s60                                // 000000005A20: 85153C24
	s_mov_b64 exec, s[20:21]                                   // 000000005A24: BEFE0114
	buffer_store_dword v70, v6, s[8:11], 0 offen               // 000000005A28: E0701000 80024606
	s_mov_b64 exec, s[36:37]                                   // 000000005A30: BEFE0124
	v_mov_b32_e32 v6, v57                                      // 000000005A34: 7E0C0339
	s_mov_b64 s[60:61], 0                                      // 000000005A38: BEBC0180
	v_readlane_b32 s82, v3, 6                                  // 000000005A3C: D2890052 00010D03
	s_and_b32 s82, s82, 0xffffff                               // 000000005A44: 8652FF52 00FFFFFF
	s_cmp_lt_u32 s82, s66                                      // 000000005A4C: BF0A4252
	s_cselect_b32 s20, s36, s60                                // 000000005A50: 85143C24
	v_readlane_b32 s82, v3, 7                                  // 000000005A54: D2890052 00010F03
	s_and_b32 s82, s82, 0xffffff                               // 000000005A5C: 8652FF52 00FFFFFF
	s_cmp_lt_u32 s82, s66                                      // 000000005A64: BF0A4252
	s_cselect_b32 s21, s36, s60                                // 000000005A68: 85153C24
	s_mov_b64 exec, s[20:21]                                   // 000000005A6C: BEFE0114
	buffer_store_dword v71, v6, s[8:11], 0 offen               // 000000005A70: E0701000 80024706
	s_mov_b64 exec, s[36:37]                                   // 000000005A78: BEFE0124
	v_mov_b32_e32 v6, v58                                      // 000000005A7C: 7E0C033A
	s_mov_b64 s[60:61], 0                                      // 000000005A80: BEBC0180
	v_readlane_b32 s82, v3, 8                                  // 000000005A84: D2890052 00011103
	s_and_b32 s82, s82, 0xffffff                               // 000000005A8C: 8652FF52 00FFFFFF
	s_cmp_lt_u32 s82, s66                                      // 000000005A94: BF0A4252
	s_cselect_b32 s20, s36, s60                                // 000000005A98: 85143C24
	v_readlane_b32 s82, v3, 9                                  // 000000005A9C: D2890052 00011303
	s_and_b32 s82, s82, 0xffffff                               // 000000005AA4: 8652FF52 00FFFFFF
	s_cmp_lt_u32 s82, s66                                      // 000000005AAC: BF0A4252
	s_cselect_b32 s21, s36, s60                                // 000000005AB0: 85153C24
	s_mov_b64 exec, s[20:21]                                   // 000000005AB4: BEFE0114
	buffer_store_dword v72, v6, s[8:11], 0 offen               // 000000005AB8: E0701000 80024806
	s_mov_b64 exec, s[36:37]                                   // 000000005AC0: BEFE0124
	v_mov_b32_e32 v6, v59                                      // 000000005AC4: 7E0C033B
	s_mov_b64 s[60:61], 0                                      // 000000005AC8: BEBC0180
	v_readlane_b32 s82, v3, 10                                 // 000000005ACC: D2890052 00011503
	s_and_b32 s82, s82, 0xffffff                               // 000000005AD4: 8652FF52 00FFFFFF
	s_cmp_lt_u32 s82, s66                                      // 000000005ADC: BF0A4252
	s_cselect_b32 s20, s36, s60                                // 000000005AE0: 85143C24
	v_readlane_b32 s82, v3, 11                                 // 000000005AE4: D2890052 00011703
	s_and_b32 s82, s82, 0xffffff                               // 000000005AEC: 8652FF52 00FFFFFF
	s_cmp_lt_u32 s82, s66                                      // 000000005AF4: BF0A4252
	s_cselect_b32 s21, s36, s60                                // 000000005AF8: 85153C24
	s_mov_b64 exec, s[20:21]                                   // 000000005AFC: BEFE0114
	buffer_store_dword v73, v6, s[8:11], 0 offen               // 000000005B00: E0701000 80024906
	s_mov_b64 exec, s[36:37]                                   // 000000005B08: BEFE0124
	v_mov_b32_e32 v6, v60                                      // 000000005B0C: 7E0C033C
	s_mov_b64 s[60:61], 0                                      // 000000005B10: BEBC0180
	v_readlane_b32 s82, v3, 12                                 // 000000005B14: D2890052 00011903
	s_and_b32 s82, s82, 0xffffff                               // 000000005B1C: 8652FF52 00FFFFFF
	s_cmp_lt_u32 s82, s66                                      // 000000005B24: BF0A4252
	s_cselect_b32 s20, s36, s60                                // 000000005B28: 85143C24
	v_readlane_b32 s82, v3, 13                                 // 000000005B2C: D2890052 00011B03
	s_and_b32 s82, s82, 0xffffff                               // 000000005B34: 8652FF52 00FFFFFF
	s_cmp_lt_u32 s82, s66                                      // 000000005B3C: BF0A4252
	s_cselect_b32 s21, s36, s60                                // 000000005B40: 85153C24
	s_mov_b64 exec, s[20:21]                                   // 000000005B44: BEFE0114
	buffer_store_dword v74, v6, s[8:11], 0 offen               // 000000005B48: E0701000 80024A06
	s_mov_b64 exec, s[36:37]                                   // 000000005B50: BEFE0124
	v_mov_b32_e32 v6, v61                                      // 000000005B54: 7E0C033D
	s_mov_b64 s[60:61], 0                                      // 000000005B58: BEBC0180
	v_readlane_b32 s82, v3, 14                                 // 000000005B5C: D2890052 00011D03
	s_and_b32 s82, s82, 0xffffff                               // 000000005B64: 8652FF52 00FFFFFF
	s_cmp_lt_u32 s82, s66                                      // 000000005B6C: BF0A4252
	s_cselect_b32 s20, s36, s60                                // 000000005B70: 85143C24
	v_readlane_b32 s82, v3, 15                                 // 000000005B74: D2890052 00011F03
	s_and_b32 s82, s82, 0xffffff                               // 000000005B7C: 8652FF52 00FFFFFF
	s_cmp_lt_u32 s82, s66                                      // 000000005B84: BF0A4252
	s_cselect_b32 s21, s36, s60                                // 000000005B88: 85153C24
	s_mov_b64 exec, s[20:21]                                   // 000000005B8C: BEFE0114
	buffer_store_dword v75, v6, s[8:11], 0 offen               // 000000005B90: E0701000 80024B06
	s_mov_b64 exec, s[36:37]                                   // 000000005B98: BEFE0124
	v_mov_b32_e32 v6, v62                                      // 000000005B9C: 7E0C033E
	s_mov_b64 s[60:61], 0                                      // 000000005BA0: BEBC0180
	v_readlane_b32 s82, v3, 16                                 // 000000005BA4: D2890052 00012103
	s_and_b32 s82, s82, 0xffffff                               // 000000005BAC: 8652FF52 00FFFFFF
	s_cmp_lt_u32 s82, s66                                      // 000000005BB4: BF0A4252
	s_cselect_b32 s20, s36, s60                                // 000000005BB8: 85143C24
	v_readlane_b32 s82, v3, 17                                 // 000000005BBC: D2890052 00012303
	s_and_b32 s82, s82, 0xffffff                               // 000000005BC4: 8652FF52 00FFFFFF
	s_cmp_lt_u32 s82, s66                                      // 000000005BCC: BF0A4252
	s_cselect_b32 s21, s36, s60                                // 000000005BD0: 85153C24
	s_mov_b64 exec, s[20:21]                                   // 000000005BD4: BEFE0114
	buffer_store_dword v76, v6, s[8:11], 0 offen               // 000000005BD8: E0701000 80024C06
	s_mov_b64 exec, s[36:37]                                   // 000000005BE0: BEFE0124
	v_mov_b32_e32 v6, v63                                      // 000000005BE4: 7E0C033F
	s_mov_b64 s[60:61], 0                                      // 000000005BE8: BEBC0180
	v_readlane_b32 s82, v3, 18                                 // 000000005BEC: D2890052 00012503
	s_and_b32 s82, s82, 0xffffff                               // 000000005BF4: 8652FF52 00FFFFFF
	s_cmp_lt_u32 s82, s66                                      // 000000005BFC: BF0A4252
	s_cselect_b32 s20, s36, s60                                // 000000005C00: 85143C24
	v_readlane_b32 s82, v3, 19                                 // 000000005C04: D2890052 00012703
	s_and_b32 s82, s82, 0xffffff                               // 000000005C0C: 8652FF52 00FFFFFF
	s_cmp_lt_u32 s82, s66                                      // 000000005C14: BF0A4252
	s_cselect_b32 s21, s36, s60                                // 000000005C18: 85153C24
	s_mov_b64 exec, s[20:21]                                   // 000000005C1C: BEFE0114
	buffer_store_dword v77, v6, s[8:11], 0 offen               // 000000005C20: E0701000 80024D06
	s_mov_b64 exec, s[36:37]                                   // 000000005C28: BEFE0124
	v_mov_b32_e32 v6, v64                                      // 000000005C2C: 7E0C0340
	s_mov_b64 s[60:61], 0                                      // 000000005C30: BEBC0180
	v_readlane_b32 s82, v3, 20                                 // 000000005C34: D2890052 00012903
	s_and_b32 s82, s82, 0xffffff                               // 000000005C3C: 8652FF52 00FFFFFF
	s_cmp_lt_u32 s82, s66                                      // 000000005C44: BF0A4252
	s_cselect_b32 s20, s36, s60                                // 000000005C48: 85143C24
	v_readlane_b32 s82, v3, 21                                 // 000000005C4C: D2890052 00012B03
	s_and_b32 s82, s82, 0xffffff                               // 000000005C54: 8652FF52 00FFFFFF
	s_cmp_lt_u32 s82, s66                                      // 000000005C5C: BF0A4252
	s_cselect_b32 s21, s36, s60                                // 000000005C60: 85153C24
	s_mov_b64 exec, s[20:21]                                   // 000000005C64: BEFE0114
	buffer_store_dword v78, v6, s[8:11], 0 offen               // 000000005C68: E0701000 80024E06
	s_mov_b64 exec, s[36:37]                                   // 000000005C70: BEFE0124
	v_mov_b32_e32 v6, v65                                      // 000000005C74: 7E0C0341
	s_mov_b64 s[60:61], 0                                      // 000000005C78: BEBC0180
	v_readlane_b32 s82, v3, 22                                 // 000000005C7C: D2890052 00012D03
	s_and_b32 s82, s82, 0xffffff                               // 000000005C84: 8652FF52 00FFFFFF
	s_cmp_lt_u32 s82, s66                                      // 000000005C8C: BF0A4252
	s_cselect_b32 s20, s36, s60                                // 000000005C90: 85143C24
	v_readlane_b32 s82, v3, 23                                 // 000000005C94: D2890052 00012F03
	s_and_b32 s82, s82, 0xffffff                               // 000000005C9C: 8652FF52 00FFFFFF
	s_cmp_lt_u32 s82, s66                                      // 000000005CA4: BF0A4252
	s_cselect_b32 s21, s36, s60                                // 000000005CA8: 85153C24
	s_mov_b64 exec, s[20:21]                                   // 000000005CAC: BEFE0114
	buffer_store_dword v79, v6, s[8:11], 0 offen               // 000000005CB0: E0701000 80024F06
	s_mov_b64 exec, s[36:37]                                   // 000000005CB8: BEFE0124
	s_branch label_20C3                                        // 000000005CBC: BF821410

0000000000005cc0 <label_0CB0>:
	ds_write_b64 v20, v[68:69]                                 // 000000005CC0: D89A0000 00004414
	ds_write_b64 v20, v[72:73] offset:2176                     // 000000005CC8: D89A0880 00004814
	ds_write_b64 v20, v[76:77] offset:4352                     // 000000005CD0: D89A1100 00004C14
	ds_write_b64 v20, v[80:81] offset:6528                     // 000000005CD8: D89A1980 00005014
	ds_write_b64 v20, v[84:85] offset:8704                     // 000000005CE0: D89A2200 00005414
	ds_write_b64 v20, v[88:89] offset:10880                    // 000000005CE8: D89A2A80 00005814
	v_lshrrev_b32_e32 v4, 5, v0                                // 000000005CF0: 20080085
	v_xor_b32_e32 v5, 1, v4                                    // 000000005CF4: 2A0A0881
	s_mul_i32 s60, s65, 2                                      // 000000005CF8: 923C8241
	s_cmp_eq_u32 s88, 0                                        // 000000005CFC: BF068058
	s_cselect_b32 s61, 1, 4                                    // 000000005D00: 853D8481
	s_mul_i32 s60, s61, s60                                    // 000000005D04: 923C3C3D
	v_readlane_b32 s82, v3, 0                                  // 000000005D08: D2890052 00010103
	s_lshr_b32 s61, s82, 24                                    // 000000005D10: 8F3D9852
	s_and_b32 s82, s82, 0xffffff                               // 000000005D14: 8652FF52 00FFFFFF
	s_mul_i32 s82, s82, s71                                    // 000000005D1C: 92524752
	s_mul_i32 s61, s60, s61                                    // 000000005D20: 923D3D3C
	s_add_u32 s82, s82, s61                                    // 000000005D24: 80523D52
	v_mul_lo_u32 v6, v5, s82                                   // 000000005D28: D2850006 0000A505
	v_readlane_b32 s82, v3, 1                                  // 000000005D30: D2890052 00010303
	s_lshr_b32 s61, s82, 24                                    // 000000005D38: 8F3D9852
	s_and_b32 s82, s82, 0xffffff                               // 000000005D3C: 8652FF52 00FFFFFF
	s_mul_i32 s82, s82, s71                                    // 000000005D44: 92524752
	s_mul_i32 s61, s60, s61                                    // 000000005D48: 923D3D3C
	s_add_u32 s82, s82, s61                                    // 000000005D4C: 80523D52
	v_mul_lo_u32 v7, v4, s82                                   // 000000005D50: D2850007 0000A504
	v_add_u32_e32 v54, v6, v7                                  // 000000005D58: 686C0F06
	v_readlane_b32 s82, v3, 2                                  // 000000005D5C: D2890052 00010503
	s_lshr_b32 s61, s82, 24                                    // 000000005D64: 8F3D9852
	s_and_b32 s82, s82, 0xffffff                               // 000000005D68: 8652FF52 00FFFFFF
	s_mul_i32 s82, s82, s71                                    // 000000005D70: 92524752
	s_mul_i32 s61, s60, s61                                    // 000000005D74: 923D3D3C
	s_add_u32 s82, s82, s61                                    // 000000005D78: 80523D52
	v_mul_lo_u32 v6, v5, s82                                   // 000000005D7C: D2850006 0000A505
	v_readlane_b32 s82, v3, 3                                  // 000000005D84: D2890052 00010703
	s_lshr_b32 s61, s82, 24                                    // 000000005D8C: 8F3D9852
	s_and_b32 s82, s82, 0xffffff                               // 000000005D90: 8652FF52 00FFFFFF
	s_mul_i32 s82, s82, s71                                    // 000000005D98: 92524752
	s_mul_i32 s61, s60, s61                                    // 000000005D9C: 923D3D3C
	s_add_u32 s82, s82, s61                                    // 000000005DA0: 80523D52
	v_mul_lo_u32 v7, v4, s82                                   // 000000005DA4: D2850007 0000A504
	v_add_u32_e32 v55, v6, v7                                  // 000000005DAC: 686E0F06
	v_readlane_b32 s82, v3, 4                                  // 000000005DB0: D2890052 00010903
	s_lshr_b32 s61, s82, 24                                    // 000000005DB8: 8F3D9852
	s_and_b32 s82, s82, 0xffffff                               // 000000005DBC: 8652FF52 00FFFFFF
	s_mul_i32 s82, s82, s71                                    // 000000005DC4: 92524752
	s_mul_i32 s61, s60, s61                                    // 000000005DC8: 923D3D3C
	s_add_u32 s82, s82, s61                                    // 000000005DCC: 80523D52
	v_mul_lo_u32 v6, v5, s82                                   // 000000005DD0: D2850006 0000A505
	v_readlane_b32 s82, v3, 5                                  // 000000005DD8: D2890052 00010B03
	s_lshr_b32 s61, s82, 24                                    // 000000005DE0: 8F3D9852
	s_and_b32 s82, s82, 0xffffff                               // 000000005DE4: 8652FF52 00FFFFFF
	s_mul_i32 s82, s82, s71                                    // 000000005DEC: 92524752
	s_mul_i32 s61, s60, s61                                    // 000000005DF0: 923D3D3C
	s_add_u32 s82, s82, s61                                    // 000000005DF4: 80523D52
	v_mul_lo_u32 v7, v4, s82                                   // 000000005DF8: D2850007 0000A504
	v_add_u32_e32 v56, v6, v7                                  // 000000005E00: 68700F06
	v_readlane_b32 s82, v3, 6                                  // 000000005E04: D2890052 00010D03
	s_lshr_b32 s61, s82, 24                                    // 000000005E0C: 8F3D9852
	s_and_b32 s82, s82, 0xffffff                               // 000000005E10: 8652FF52 00FFFFFF
	s_mul_i32 s82, s82, s71                                    // 000000005E18: 92524752
	s_mul_i32 s61, s60, s61                                    // 000000005E1C: 923D3D3C
	s_add_u32 s82, s82, s61                                    // 000000005E20: 80523D52
	v_mul_lo_u32 v6, v5, s82                                   // 000000005E24: D2850006 0000A505
	v_readlane_b32 s82, v3, 7                                  // 000000005E2C: D2890052 00010F03
	s_lshr_b32 s61, s82, 24                                    // 000000005E34: 8F3D9852
	s_and_b32 s82, s82, 0xffffff                               // 000000005E38: 8652FF52 00FFFFFF
	s_mul_i32 s82, s82, s71                                    // 000000005E40: 92524752
	s_mul_i32 s61, s60, s61                                    // 000000005E44: 923D3D3C
	s_add_u32 s82, s82, s61                                    // 000000005E48: 80523D52
	v_mul_lo_u32 v7, v4, s82                                   // 000000005E4C: D2850007 0000A504
	v_add_u32_e32 v57, v6, v7                                  // 000000005E54: 68720F06
	v_readlane_b32 s82, v3, 8                                  // 000000005E58: D2890052 00011103
	s_lshr_b32 s61, s82, 24                                    // 000000005E60: 8F3D9852
	s_and_b32 s82, s82, 0xffffff                               // 000000005E64: 8652FF52 00FFFFFF
	s_mul_i32 s82, s82, s71                                    // 000000005E6C: 92524752
	s_mul_i32 s61, s60, s61                                    // 000000005E70: 923D3D3C
	s_add_u32 s82, s82, s61                                    // 000000005E74: 80523D52
	v_mul_lo_u32 v6, v5, s82                                   // 000000005E78: D2850006 0000A505
	v_readlane_b32 s82, v3, 9                                  // 000000005E80: D2890052 00011303
	s_lshr_b32 s61, s82, 24                                    // 000000005E88: 8F3D9852
	s_and_b32 s82, s82, 0xffffff                               // 000000005E8C: 8652FF52 00FFFFFF
	s_mul_i32 s82, s82, s71                                    // 000000005E94: 92524752
	s_mul_i32 s61, s60, s61                                    // 000000005E98: 923D3D3C
	s_add_u32 s82, s82, s61                                    // 000000005E9C: 80523D52
	v_mul_lo_u32 v7, v4, s82                                   // 000000005EA0: D2850007 0000A504
	v_add_u32_e32 v58, v6, v7                                  // 000000005EA8: 68740F06
	v_readlane_b32 s82, v3, 10                                 // 000000005EAC: D2890052 00011503
	s_lshr_b32 s61, s82, 24                                    // 000000005EB4: 8F3D9852
	s_and_b32 s82, s82, 0xffffff                               // 000000005EB8: 8652FF52 00FFFFFF
	s_mul_i32 s82, s82, s71                                    // 000000005EC0: 92524752
	s_mul_i32 s61, s60, s61                                    // 000000005EC4: 923D3D3C
	s_add_u32 s82, s82, s61                                    // 000000005EC8: 80523D52
	v_mul_lo_u32 v6, v5, s82                                   // 000000005ECC: D2850006 0000A505
	v_readlane_b32 s82, v3, 11                                 // 000000005ED4: D2890052 00011703
	s_lshr_b32 s61, s82, 24                                    // 000000005EDC: 8F3D9852
	s_and_b32 s82, s82, 0xffffff                               // 000000005EE0: 8652FF52 00FFFFFF
	s_mul_i32 s82, s82, s71                                    // 000000005EE8: 92524752
	s_mul_i32 s61, s60, s61                                    // 000000005EEC: 923D3D3C
	s_add_u32 s82, s82, s61                                    // 000000005EF0: 80523D52
	v_mul_lo_u32 v7, v4, s82                                   // 000000005EF4: D2850007 0000A504
	v_add_u32_e32 v59, v6, v7                                  // 000000005EFC: 68760F06
	v_readlane_b32 s82, v3, 12                                 // 000000005F00: D2890052 00011903
	s_lshr_b32 s61, s82, 24                                    // 000000005F08: 8F3D9852
	s_and_b32 s82, s82, 0xffffff                               // 000000005F0C: 8652FF52 00FFFFFF
	s_mul_i32 s82, s82, s71                                    // 000000005F14: 92524752
	s_mul_i32 s61, s60, s61                                    // 000000005F18: 923D3D3C
	s_add_u32 s82, s82, s61                                    // 000000005F1C: 80523D52
	v_mul_lo_u32 v6, v5, s82                                   // 000000005F20: D2850006 0000A505
	v_readlane_b32 s82, v3, 13                                 // 000000005F28: D2890052 00011B03
	s_lshr_b32 s61, s82, 24                                    // 000000005F30: 8F3D9852
	s_and_b32 s82, s82, 0xffffff                               // 000000005F34: 8652FF52 00FFFFFF
	s_mul_i32 s82, s82, s71                                    // 000000005F3C: 92524752
	s_mul_i32 s61, s60, s61                                    // 000000005F40: 923D3D3C
	s_add_u32 s82, s82, s61                                    // 000000005F44: 80523D52
	v_mul_lo_u32 v7, v4, s82                                   // 000000005F48: D2850007 0000A504
	v_add_u32_e32 v60, v6, v7                                  // 000000005F50: 68780F06
	v_readlane_b32 s82, v3, 14                                 // 000000005F54: D2890052 00011D03
	s_lshr_b32 s61, s82, 24                                    // 000000005F5C: 8F3D9852
	s_and_b32 s82, s82, 0xffffff                               // 000000005F60: 8652FF52 00FFFFFF
	s_mul_i32 s82, s82, s71                                    // 000000005F68: 92524752
	s_mul_i32 s61, s60, s61                                    // 000000005F6C: 923D3D3C
	s_add_u32 s82, s82, s61                                    // 000000005F70: 80523D52
	v_mul_lo_u32 v6, v5, s82                                   // 000000005F74: D2850006 0000A505
	v_readlane_b32 s82, v3, 15                                 // 000000005F7C: D2890052 00011F03
	s_lshr_b32 s61, s82, 24                                    // 000000005F84: 8F3D9852
	s_and_b32 s82, s82, 0xffffff                               // 000000005F88: 8652FF52 00FFFFFF
	s_mul_i32 s82, s82, s71                                    // 000000005F90: 92524752
	s_mul_i32 s61, s60, s61                                    // 000000005F94: 923D3D3C
	s_add_u32 s82, s82, s61                                    // 000000005F98: 80523D52
	v_mul_lo_u32 v7, v4, s82                                   // 000000005F9C: D2850007 0000A504
	v_add_u32_e32 v61, v6, v7                                  // 000000005FA4: 687A0F06
	v_readlane_b32 s82, v3, 16                                 // 000000005FA8: D2890052 00012103
	s_lshr_b32 s61, s82, 24                                    // 000000005FB0: 8F3D9852
	s_and_b32 s82, s82, 0xffffff                               // 000000005FB4: 8652FF52 00FFFFFF
	s_mul_i32 s82, s82, s71                                    // 000000005FBC: 92524752
	s_mul_i32 s61, s60, s61                                    // 000000005FC0: 923D3D3C
	s_add_u32 s82, s82, s61                                    // 000000005FC4: 80523D52
	v_mul_lo_u32 v6, v5, s82                                   // 000000005FC8: D2850006 0000A505
	v_readlane_b32 s82, v3, 17                                 // 000000005FD0: D2890052 00012303
	s_lshr_b32 s61, s82, 24                                    // 000000005FD8: 8F3D9852
	s_and_b32 s82, s82, 0xffffff                               // 000000005FDC: 8652FF52 00FFFFFF
	s_mul_i32 s82, s82, s71                                    // 000000005FE4: 92524752
	s_mul_i32 s61, s60, s61                                    // 000000005FE8: 923D3D3C
	s_add_u32 s82, s82, s61                                    // 000000005FEC: 80523D52
	v_mul_lo_u32 v7, v4, s82                                   // 000000005FF0: D2850007 0000A504
	v_add_u32_e32 v62, v6, v7                                  // 000000005FF8: 687C0F06
	v_readlane_b32 s82, v3, 18                                 // 000000005FFC: D2890052 00012503
	s_lshr_b32 s61, s82, 24                                    // 000000006004: 8F3D9852
	s_and_b32 s82, s82, 0xffffff                               // 000000006008: 8652FF52 00FFFFFF
	s_mul_i32 s82, s82, s71                                    // 000000006010: 92524752
	s_mul_i32 s61, s60, s61                                    // 000000006014: 923D3D3C
	s_add_u32 s82, s82, s61                                    // 000000006018: 80523D52
	v_mul_lo_u32 v6, v5, s82                                   // 00000000601C: D2850006 0000A505
	v_readlane_b32 s82, v3, 19                                 // 000000006024: D2890052 00012703
	s_lshr_b32 s61, s82, 24                                    // 00000000602C: 8F3D9852
	s_and_b32 s82, s82, 0xffffff                               // 000000006030: 8652FF52 00FFFFFF
	s_mul_i32 s82, s82, s71                                    // 000000006038: 92524752
	s_mul_i32 s61, s60, s61                                    // 00000000603C: 923D3D3C
	s_add_u32 s82, s82, s61                                    // 000000006040: 80523D52
	v_mul_lo_u32 v7, v4, s82                                   // 000000006044: D2850007 0000A504
	v_add_u32_e32 v63, v6, v7                                  // 00000000604C: 687E0F06
	v_readlane_b32 s82, v3, 20                                 // 000000006050: D2890052 00012903
	s_lshr_b32 s61, s82, 24                                    // 000000006058: 8F3D9852
	s_and_b32 s82, s82, 0xffffff                               // 00000000605C: 8652FF52 00FFFFFF
	s_mul_i32 s82, s82, s71                                    // 000000006064: 92524752
	s_mul_i32 s61, s60, s61                                    // 000000006068: 923D3D3C
	s_add_u32 s82, s82, s61                                    // 00000000606C: 80523D52
	v_mul_lo_u32 v6, v5, s82                                   // 000000006070: D2850006 0000A505
	v_readlane_b32 s82, v3, 21                                 // 000000006078: D2890052 00012B03
	s_lshr_b32 s61, s82, 24                                    // 000000006080: 8F3D9852
	s_and_b32 s82, s82, 0xffffff                               // 000000006084: 8652FF52 00FFFFFF
	s_mul_i32 s82, s82, s71                                    // 00000000608C: 92524752
	s_mul_i32 s61, s60, s61                                    // 000000006090: 923D3D3C
	s_add_u32 s82, s82, s61                                    // 000000006094: 80523D52
	v_mul_lo_u32 v7, v4, s82                                   // 000000006098: D2850007 0000A504
	v_add_u32_e32 v64, v6, v7                                  // 0000000060A0: 68800F06
	v_readlane_b32 s82, v3, 22                                 // 0000000060A4: D2890052 00012D03
	s_lshr_b32 s61, s82, 24                                    // 0000000060AC: 8F3D9852
	s_and_b32 s82, s82, 0xffffff                               // 0000000060B0: 8652FF52 00FFFFFF
	s_mul_i32 s82, s82, s71                                    // 0000000060B8: 92524752
	s_mul_i32 s61, s60, s61                                    // 0000000060BC: 923D3D3C
	s_add_u32 s82, s82, s61                                    // 0000000060C0: 80523D52
	v_mul_lo_u32 v6, v5, s82                                   // 0000000060C4: D2850006 0000A505
	v_readlane_b32 s82, v3, 23                                 // 0000000060CC: D2890052 00012F03
	s_lshr_b32 s61, s82, 24                                    // 0000000060D4: 8F3D9852
	s_and_b32 s82, s82, 0xffffff                               // 0000000060D8: 8652FF52 00FFFFFF
	s_mul_i32 s82, s82, s71                                    // 0000000060E0: 92524752
	s_mul_i32 s61, s60, s61                                    // 0000000060E4: 923D3D3C
	s_add_u32 s82, s82, s61                                    // 0000000060E8: 80523D52
	v_mul_lo_u32 v7, v4, s82                                   // 0000000060EC: D2850007 0000A504
	v_add_u32_e32 v65, v6, v7                                  // 0000000060F4: 68820F06
	v_and_b32_e32 v4, 31, v0                                   // 0000000060F8: 2608009F
	v_lshrrev_b32_e32 v4, 1, v4                                // 0000000060FC: 20080881
	s_cmp_eq_u32 s88, 0                                        // 000000006100: BF068058
	s_cselect_b32 s61, 2, 4                                    // 000000006104: 853D8482
	v_mul_lo_u32 v4, v4, s61                                   // 000000006108: D2850004 00007B04
	v_and_b32_e64 v5, v0, 1                                    // 000000006110: D1130005 00010300
	v_add_u32_e32 v4, v4, v5                                   // 000000006118: 68080B04
	v_lshlrev_b32_e32 v4, 2, v4                                // 00000000611C: 24080882
	v_add_u32_e32 v54, v54, v4                                 // 000000006120: 686C0936
	v_add_u32_e32 v55, v55, v4                                 // 000000006124: 686E0937
	v_add_u32_e32 v56, v56, v4                                 // 000000006128: 68700938
	v_add_u32_e32 v57, v57, v4                                 // 00000000612C: 68720939
	v_add_u32_e32 v58, v58, v4                                 // 000000006130: 6874093A
	v_add_u32_e32 v59, v59, v4                                 // 000000006134: 6876093B
	v_add_u32_e32 v60, v60, v4                                 // 000000006138: 6878093C
	v_add_u32_e32 v61, v61, v4                                 // 00000000613C: 687A093D
	v_add_u32_e32 v62, v62, v4                                 // 000000006140: 687C093E
	v_add_u32_e32 v63, v63, v4                                 // 000000006144: 687E093F
	v_add_u32_e32 v64, v64, v4                                 // 000000006148: 68800940
	v_add_u32_e32 v65, v65, v4                                 // 00000000614C: 68820941
	s_waitcnt lgkmcnt(0)                                       // 000000006150: BF8CC07F
	s_barrier                                                  // 000000006154: BF8A0000
	ds_read_b32 v68, v21                                       // 000000006158: D86C0000 44000015
	ds_read_b32 v69, v21 offset:64                             // 000000006160: D86C0040 45000015
	ds_read_b32 v72, v21 offset:2176                           // 000000006168: D86C0880 48000015
	ds_read_b32 v73, v21 offset:2240                           // 000000006170: D86C08C0 49000015
	ds_read_b32 v76, v21 offset:4352                           // 000000006178: D86C1100 4C000015
	ds_read_b32 v77, v21 offset:4416                           // 000000006180: D86C1140 4D000015
	ds_read_b32 v80, v21 offset:6528                           // 000000006188: D86C1980 50000015
	ds_read_b32 v81, v21 offset:6592                           // 000000006190: D86C19C0 51000015
	ds_read_b32 v84, v21 offset:8704                           // 000000006198: D86C2200 54000015
	ds_read_b32 v85, v21 offset:8768                           // 0000000061A0: D86C2240 55000015
	ds_read_b32 v88, v21 offset:10880                          // 0000000061A8: D86C2A80 58000015
	ds_read_b32 v89, v21 offset:10944                          // 0000000061B0: D86C2AC0 59000015
	s_waitcnt lgkmcnt(0)                                       // 0000000061B8: BF8CC07F
	s_mov_b32 s36, -1                                          // 0000000061BC: BEA400C1
	s_mov_b32 s37, -1                                          // 0000000061C0: BEA500C1
	v_mov_b32_e32 v7, 0                                        // 0000000061C4: 7E0E0280
	s_mov_b64 exec, s[36:37]                                   // 0000000061C8: BEFE0124
	v_mov_b32_e32 v6, v54                                      // 0000000061CC: 7E0C0336
	s_mov_b64 s[60:61], 0                                      // 0000000061D0: BEBC0180
	v_readlane_b32 s82, v3, 0                                  // 0000000061D4: D2890052 00010103
	s_and_b32 s82, s82, 0xffffff                               // 0000000061DC: 8652FF52 00FFFFFF
	s_cmp_lt_u32 s82, s66                                      // 0000000061E4: BF0A4252
	s_cselect_b32 s20, s36, s60                                // 0000000061E8: 85143C24
	v_readlane_b32 s82, v3, 1                                  // 0000000061EC: D2890052 00010303
	s_and_b32 s82, s82, 0xffffff                               // 0000000061F4: 8652FF52 00FFFFFF
	s_cmp_lt_u32 s82, s66                                      // 0000000061FC: BF0A4252
	s_cselect_b32 s21, s36, s60                                // 000000006200: 85153C24
	s_mov_b64 exec, s[20:21]                                   // 000000006204: BEFE0114
	global_atomic_add_f32 v6, v68, s[8:9]                      // 000000006208: DD348000 00084406
	s_mov_b64 exec, s[36:37]                                   // 000000006210: BEFE0124
	v_mov_b32_e32 v6, v55                                      // 000000006214: 7E0C0337
	s_mov_b64 s[60:61], 0                                      // 000000006218: BEBC0180
	v_readlane_b32 s82, v3, 2                                  // 00000000621C: D2890052 00010503
	s_and_b32 s82, s82, 0xffffff                               // 000000006224: 8652FF52 00FFFFFF
	s_cmp_lt_u32 s82, s66                                      // 00000000622C: BF0A4252
	s_cselect_b32 s20, s36, s60                                // 000000006230: 85143C24
	v_readlane_b32 s82, v3, 3                                  // 000000006234: D2890052 00010703
	s_and_b32 s82, s82, 0xffffff                               // 00000000623C: 8652FF52 00FFFFFF
	s_cmp_lt_u32 s82, s66                                      // 000000006244: BF0A4252
	s_cselect_b32 s21, s36, s60                                // 000000006248: 85153C24
	s_mov_b64 exec, s[20:21]                                   // 00000000624C: BEFE0114
	global_atomic_add_f32 v6, v69, s[8:9]                      // 000000006250: DD348000 00084506
	s_mov_b64 exec, s[36:37]                                   // 000000006258: BEFE0124
	v_mov_b32_e32 v6, v56                                      // 00000000625C: 7E0C0338
	s_mov_b64 s[60:61], 0                                      // 000000006260: BEBC0180
	v_readlane_b32 s82, v3, 4                                  // 000000006264: D2890052 00010903
	s_and_b32 s82, s82, 0xffffff                               // 00000000626C: 8652FF52 00FFFFFF
	s_cmp_lt_u32 s82, s66                                      // 000000006274: BF0A4252
	s_cselect_b32 s20, s36, s60                                // 000000006278: 85143C24
	v_readlane_b32 s82, v3, 5                                  // 00000000627C: D2890052 00010B03
	s_and_b32 s82, s82, 0xffffff                               // 000000006284: 8652FF52 00FFFFFF
	s_cmp_lt_u32 s82, s66                                      // 00000000628C: BF0A4252
	s_cselect_b32 s21, s36, s60                                // 000000006290: 85153C24
	s_mov_b64 exec, s[20:21]                                   // 000000006294: BEFE0114
	global_atomic_add_f32 v6, v72, s[8:9]                      // 000000006298: DD348000 00084806
	s_mov_b64 exec, s[36:37]                                   // 0000000062A0: BEFE0124
	v_mov_b32_e32 v6, v57                                      // 0000000062A4: 7E0C0339
	s_mov_b64 s[60:61], 0                                      // 0000000062A8: BEBC0180
	v_readlane_b32 s82, v3, 6                                  // 0000000062AC: D2890052 00010D03
	s_and_b32 s82, s82, 0xffffff                               // 0000000062B4: 8652FF52 00FFFFFF
	s_cmp_lt_u32 s82, s66                                      // 0000000062BC: BF0A4252
	s_cselect_b32 s20, s36, s60                                // 0000000062C0: 85143C24
	v_readlane_b32 s82, v3, 7                                  // 0000000062C4: D2890052 00010F03
	s_and_b32 s82, s82, 0xffffff                               // 0000000062CC: 8652FF52 00FFFFFF
	s_cmp_lt_u32 s82, s66                                      // 0000000062D4: BF0A4252
	s_cselect_b32 s21, s36, s60                                // 0000000062D8: 85153C24
	s_mov_b64 exec, s[20:21]                                   // 0000000062DC: BEFE0114
	global_atomic_add_f32 v6, v73, s[8:9]                      // 0000000062E0: DD348000 00084906
	s_mov_b64 exec, s[36:37]                                   // 0000000062E8: BEFE0124
	v_mov_b32_e32 v6, v58                                      // 0000000062EC: 7E0C033A
	s_mov_b64 s[60:61], 0                                      // 0000000062F0: BEBC0180
	v_readlane_b32 s82, v3, 8                                  // 0000000062F4: D2890052 00011103
	s_and_b32 s82, s82, 0xffffff                               // 0000000062FC: 8652FF52 00FFFFFF
	s_cmp_lt_u32 s82, s66                                      // 000000006304: BF0A4252
	s_cselect_b32 s20, s36, s60                                // 000000006308: 85143C24
	v_readlane_b32 s82, v3, 9                                  // 00000000630C: D2890052 00011303
	s_and_b32 s82, s82, 0xffffff                               // 000000006314: 8652FF52 00FFFFFF
	s_cmp_lt_u32 s82, s66                                      // 00000000631C: BF0A4252
	s_cselect_b32 s21, s36, s60                                // 000000006320: 85153C24
	s_mov_b64 exec, s[20:21]                                   // 000000006324: BEFE0114
	global_atomic_add_f32 v6, v76, s[8:9]                      // 000000006328: DD348000 00084C06
	s_mov_b64 exec, s[36:37]                                   // 000000006330: BEFE0124
	v_mov_b32_e32 v6, v59                                      // 000000006334: 7E0C033B
	s_mov_b64 s[60:61], 0                                      // 000000006338: BEBC0180
	v_readlane_b32 s82, v3, 10                                 // 00000000633C: D2890052 00011503
	s_and_b32 s82, s82, 0xffffff                               // 000000006344: 8652FF52 00FFFFFF
	s_cmp_lt_u32 s82, s66                                      // 00000000634C: BF0A4252
	s_cselect_b32 s20, s36, s60                                // 000000006350: 85143C24
	v_readlane_b32 s82, v3, 11                                 // 000000006354: D2890052 00011703
	s_and_b32 s82, s82, 0xffffff                               // 00000000635C: 8652FF52 00FFFFFF
	s_cmp_lt_u32 s82, s66                                      // 000000006364: BF0A4252
	s_cselect_b32 s21, s36, s60                                // 000000006368: 85153C24
	s_mov_b64 exec, s[20:21]                                   // 00000000636C: BEFE0114
	global_atomic_add_f32 v6, v77, s[8:9]                      // 000000006370: DD348000 00084D06
	s_mov_b64 exec, s[36:37]                                   // 000000006378: BEFE0124
	v_mov_b32_e32 v6, v60                                      // 00000000637C: 7E0C033C
	s_mov_b64 s[60:61], 0                                      // 000000006380: BEBC0180
	v_readlane_b32 s82, v3, 12                                 // 000000006384: D2890052 00011903
	s_and_b32 s82, s82, 0xffffff                               // 00000000638C: 8652FF52 00FFFFFF
	s_cmp_lt_u32 s82, s66                                      // 000000006394: BF0A4252
	s_cselect_b32 s20, s36, s60                                // 000000006398: 85143C24
	v_readlane_b32 s82, v3, 13                                 // 00000000639C: D2890052 00011B03
	s_and_b32 s82, s82, 0xffffff                               // 0000000063A4: 8652FF52 00FFFFFF
	s_cmp_lt_u32 s82, s66                                      // 0000000063AC: BF0A4252
	s_cselect_b32 s21, s36, s60                                // 0000000063B0: 85153C24
	s_mov_b64 exec, s[20:21]                                   // 0000000063B4: BEFE0114
	global_atomic_add_f32 v6, v80, s[8:9]                      // 0000000063B8: DD348000 00085006
	s_mov_b64 exec, s[36:37]                                   // 0000000063C0: BEFE0124
	v_mov_b32_e32 v6, v61                                      // 0000000063C4: 7E0C033D
	s_mov_b64 s[60:61], 0                                      // 0000000063C8: BEBC0180
	v_readlane_b32 s82, v3, 14                                 // 0000000063CC: D2890052 00011D03
	s_and_b32 s82, s82, 0xffffff                               // 0000000063D4: 8652FF52 00FFFFFF
	s_cmp_lt_u32 s82, s66                                      // 0000000063DC: BF0A4252
	s_cselect_b32 s20, s36, s60                                // 0000000063E0: 85143C24
	v_readlane_b32 s82, v3, 15                                 // 0000000063E4: D2890052 00011F03
	s_and_b32 s82, s82, 0xffffff                               // 0000000063EC: 8652FF52 00FFFFFF
	s_cmp_lt_u32 s82, s66                                      // 0000000063F4: BF0A4252
	s_cselect_b32 s21, s36, s60                                // 0000000063F8: 85153C24
	s_mov_b64 exec, s[20:21]                                   // 0000000063FC: BEFE0114
	global_atomic_add_f32 v6, v81, s[8:9]                      // 000000006400: DD348000 00085106
	s_mov_b64 exec, s[36:37]                                   // 000000006408: BEFE0124
	v_mov_b32_e32 v6, v62                                      // 00000000640C: 7E0C033E
	s_mov_b64 s[60:61], 0                                      // 000000006410: BEBC0180
	v_readlane_b32 s82, v3, 16                                 // 000000006414: D2890052 00012103
	s_and_b32 s82, s82, 0xffffff                               // 00000000641C: 8652FF52 00FFFFFF
	s_cmp_lt_u32 s82, s66                                      // 000000006424: BF0A4252
	s_cselect_b32 s20, s36, s60                                // 000000006428: 85143C24
	v_readlane_b32 s82, v3, 17                                 // 00000000642C: D2890052 00012303
	s_and_b32 s82, s82, 0xffffff                               // 000000006434: 8652FF52 00FFFFFF
	s_cmp_lt_u32 s82, s66                                      // 00000000643C: BF0A4252
	s_cselect_b32 s21, s36, s60                                // 000000006440: 85153C24
	s_mov_b64 exec, s[20:21]                                   // 000000006444: BEFE0114
	global_atomic_add_f32 v6, v84, s[8:9]                      // 000000006448: DD348000 00085406
	s_mov_b64 exec, s[36:37]                                   // 000000006450: BEFE0124
	v_mov_b32_e32 v6, v63                                      // 000000006454: 7E0C033F
	s_mov_b64 s[60:61], 0                                      // 000000006458: BEBC0180
	v_readlane_b32 s82, v3, 18                                 // 00000000645C: D2890052 00012503
	s_and_b32 s82, s82, 0xffffff                               // 000000006464: 8652FF52 00FFFFFF
	s_cmp_lt_u32 s82, s66                                      // 00000000646C: BF0A4252
	s_cselect_b32 s20, s36, s60                                // 000000006470: 85143C24
	v_readlane_b32 s82, v3, 19                                 // 000000006474: D2890052 00012703
	s_and_b32 s82, s82, 0xffffff                               // 00000000647C: 8652FF52 00FFFFFF
	s_cmp_lt_u32 s82, s66                                      // 000000006484: BF0A4252
	s_cselect_b32 s21, s36, s60                                // 000000006488: 85153C24
	s_mov_b64 exec, s[20:21]                                   // 00000000648C: BEFE0114
	global_atomic_add_f32 v6, v85, s[8:9]                      // 000000006490: DD348000 00085506
	s_mov_b64 exec, s[36:37]                                   // 000000006498: BEFE0124
	v_mov_b32_e32 v6, v64                                      // 00000000649C: 7E0C0340
	s_mov_b64 s[60:61], 0                                      // 0000000064A0: BEBC0180
	v_readlane_b32 s82, v3, 20                                 // 0000000064A4: D2890052 00012903
	s_and_b32 s82, s82, 0xffffff                               // 0000000064AC: 8652FF52 00FFFFFF
	s_cmp_lt_u32 s82, s66                                      // 0000000064B4: BF0A4252
	s_cselect_b32 s20, s36, s60                                // 0000000064B8: 85143C24
	v_readlane_b32 s82, v3, 21                                 // 0000000064BC: D2890052 00012B03
	s_and_b32 s82, s82, 0xffffff                               // 0000000064C4: 8652FF52 00FFFFFF
	s_cmp_lt_u32 s82, s66                                      // 0000000064CC: BF0A4252
	s_cselect_b32 s21, s36, s60                                // 0000000064D0: 85153C24
	s_mov_b64 exec, s[20:21]                                   // 0000000064D4: BEFE0114
	global_atomic_add_f32 v6, v88, s[8:9]                      // 0000000064D8: DD348000 00085806
	s_mov_b64 exec, s[36:37]                                   // 0000000064E0: BEFE0124
	v_mov_b32_e32 v6, v65                                      // 0000000064E4: 7E0C0341
	s_mov_b64 s[60:61], 0                                      // 0000000064E8: BEBC0180
	v_readlane_b32 s82, v3, 22                                 // 0000000064EC: D2890052 00012D03
	s_and_b32 s82, s82, 0xffffff                               // 0000000064F4: 8652FF52 00FFFFFF
	s_cmp_lt_u32 s82, s66                                      // 0000000064FC: BF0A4252
	s_cselect_b32 s20, s36, s60                                // 000000006500: 85143C24
	v_readlane_b32 s82, v3, 23                                 // 000000006504: D2890052 00012F03
	s_and_b32 s82, s82, 0xffffff                               // 00000000650C: 8652FF52 00FFFFFF
	s_cmp_lt_u32 s82, s66                                      // 000000006514: BF0A4252
	s_cselect_b32 s21, s36, s60                                // 000000006518: 85153C24
	s_mov_b64 exec, s[20:21]                                   // 00000000651C: BEFE0114
	global_atomic_add_f32 v6, v89, s[8:9]                      // 000000006520: DD348000 00085906
	s_mov_b64 exec, s[36:37]                                   // 000000006528: BEFE0124
	ds_write_b64 v20, v[70:71]                                 // 00000000652C: D89A0000 00004614
	ds_write_b64 v20, v[74:75] offset:2176                     // 000000006534: D89A0880 00004A14
	ds_write_b64 v20, v[78:79] offset:4352                     // 00000000653C: D89A1100 00004E14
	ds_write_b64 v20, v[82:83] offset:6528                     // 000000006544: D89A1980 00005214
	ds_write_b64 v20, v[86:87] offset:8704                     // 00000000654C: D89A2200 00005614
	ds_write_b64 v20, v[90:91] offset:10880                    // 000000006554: D89A2A80 00005A14
	s_waitcnt lgkmcnt(0)                                       // 00000000655C: BF8CC07F
	s_barrier                                                  // 000000006560: BF8A0000
	ds_read_b32 v70, v21                                       // 000000006564: D86C0000 46000015
	ds_read_b32 v71, v21 offset:64                             // 00000000656C: D86C0040 47000015
	ds_read_b32 v74, v21 offset:2176                           // 000000006574: D86C0880 4A000015
	ds_read_b32 v75, v21 offset:2240                           // 00000000657C: D86C08C0 4B000015
	ds_read_b32 v78, v21 offset:4352                           // 000000006584: D86C1100 4E000015
	ds_read_b32 v79, v21 offset:4416                           // 00000000658C: D86C1140 4F000015
	ds_read_b32 v82, v21 offset:6528                           // 000000006594: D86C1980 52000015
	ds_read_b32 v83, v21 offset:6592                           // 00000000659C: D86C19C0 53000015
	ds_read_b32 v86, v21 offset:8704                           // 0000000065A4: D86C2200 56000015
	ds_read_b32 v87, v21 offset:8768                           // 0000000065AC: D86C2240 57000015
	ds_read_b32 v90, v21 offset:10880                          // 0000000065B4: D86C2A80 5A000015
	ds_read_b32 v91, v21 offset:10944                          // 0000000065BC: D86C2AC0 5B000015
	s_waitcnt lgkmcnt(0)                                       // 0000000065C4: BF8CC07F
	v_mov_b32_e32 v7, 0                                        // 0000000065C8: 7E0E0280
	s_mov_b64 exec, s[36:37]                                   // 0000000065CC: BEFE0124
	v_mov_b32_e32 v6, v54                                      // 0000000065D0: 7E0C0336
	s_mov_b64 s[60:61], 0                                      // 0000000065D4: BEBC0180
	v_readlane_b32 s82, v3, 0                                  // 0000000065D8: D2890052 00010103
	s_and_b32 s82, s82, 0xffffff                               // 0000000065E0: 8652FF52 00FFFFFF
	s_cmp_lt_u32 s82, s66                                      // 0000000065E8: BF0A4252
	s_cselect_b32 s20, s36, s60                                // 0000000065EC: 85143C24
	v_readlane_b32 s82, v3, 1                                  // 0000000065F0: D2890052 00010303
	s_and_b32 s82, s82, 0xffffff                               // 0000000065F8: 8652FF52 00FFFFFF
	s_cmp_lt_u32 s82, s66                                      // 000000006600: BF0A4252
	s_cselect_b32 s21, s36, s60                                // 000000006604: 85153C24
	s_mov_b64 exec, s[20:21]                                   // 000000006608: BEFE0114
	global_atomic_add_f32 v6, v70, s[8:9] offset:8             // 00000000660C: DD348008 00084606
	s_mov_b64 exec, s[36:37]                                   // 000000006614: BEFE0124
	v_mov_b32_e32 v6, v55                                      // 000000006618: 7E0C0337
	s_mov_b64 s[60:61], 0                                      // 00000000661C: BEBC0180
	v_readlane_b32 s82, v3, 2                                  // 000000006620: D2890052 00010503
	s_and_b32 s82, s82, 0xffffff                               // 000000006628: 8652FF52 00FFFFFF
	s_cmp_lt_u32 s82, s66                                      // 000000006630: BF0A4252
	s_cselect_b32 s20, s36, s60                                // 000000006634: 85143C24
	v_readlane_b32 s82, v3, 3                                  // 000000006638: D2890052 00010703
	s_and_b32 s82, s82, 0xffffff                               // 000000006640: 8652FF52 00FFFFFF
	s_cmp_lt_u32 s82, s66                                      // 000000006648: BF0A4252
	s_cselect_b32 s21, s36, s60                                // 00000000664C: 85153C24
	s_mov_b64 exec, s[20:21]                                   // 000000006650: BEFE0114
	global_atomic_add_f32 v6, v71, s[8:9] offset:8             // 000000006654: DD348008 00084706
	s_mov_b64 exec, s[36:37]                                   // 00000000665C: BEFE0124
	v_mov_b32_e32 v6, v56                                      // 000000006660: 7E0C0338
	s_mov_b64 s[60:61], 0                                      // 000000006664: BEBC0180
	v_readlane_b32 s82, v3, 4                                  // 000000006668: D2890052 00010903
	s_and_b32 s82, s82, 0xffffff                               // 000000006670: 8652FF52 00FFFFFF
	s_cmp_lt_u32 s82, s66                                      // 000000006678: BF0A4252
	s_cselect_b32 s20, s36, s60                                // 00000000667C: 85143C24
	v_readlane_b32 s82, v3, 5                                  // 000000006680: D2890052 00010B03
	s_and_b32 s82, s82, 0xffffff                               // 000000006688: 8652FF52 00FFFFFF
	s_cmp_lt_u32 s82, s66                                      // 000000006690: BF0A4252
	s_cselect_b32 s21, s36, s60                                // 000000006694: 85153C24
	s_mov_b64 exec, s[20:21]                                   // 000000006698: BEFE0114
	global_atomic_add_f32 v6, v74, s[8:9] offset:8             // 00000000669C: DD348008 00084A06
	s_mov_b64 exec, s[36:37]                                   // 0000000066A4: BEFE0124
	v_mov_b32_e32 v6, v57                                      // 0000000066A8: 7E0C0339
	s_mov_b64 s[60:61], 0                                      // 0000000066AC: BEBC0180
	v_readlane_b32 s82, v3, 6                                  // 0000000066B0: D2890052 00010D03
	s_and_b32 s82, s82, 0xffffff                               // 0000000066B8: 8652FF52 00FFFFFF
	s_cmp_lt_u32 s82, s66                                      // 0000000066C0: BF0A4252
	s_cselect_b32 s20, s36, s60                                // 0000000066C4: 85143C24
	v_readlane_b32 s82, v3, 7                                  // 0000000066C8: D2890052 00010F03
	s_and_b32 s82, s82, 0xffffff                               // 0000000066D0: 8652FF52 00FFFFFF
	s_cmp_lt_u32 s82, s66                                      // 0000000066D8: BF0A4252
	s_cselect_b32 s21, s36, s60                                // 0000000066DC: 85153C24
	s_mov_b64 exec, s[20:21]                                   // 0000000066E0: BEFE0114
	global_atomic_add_f32 v6, v75, s[8:9] offset:8             // 0000000066E4: DD348008 00084B06
	s_mov_b64 exec, s[36:37]                                   // 0000000066EC: BEFE0124
	v_mov_b32_e32 v6, v58                                      // 0000000066F0: 7E0C033A
	s_mov_b64 s[60:61], 0                                      // 0000000066F4: BEBC0180
	v_readlane_b32 s82, v3, 8                                  // 0000000066F8: D2890052 00011103
	s_and_b32 s82, s82, 0xffffff                               // 000000006700: 8652FF52 00FFFFFF
	s_cmp_lt_u32 s82, s66                                      // 000000006708: BF0A4252
	s_cselect_b32 s20, s36, s60                                // 00000000670C: 85143C24
	v_readlane_b32 s82, v3, 9                                  // 000000006710: D2890052 00011303
	s_and_b32 s82, s82, 0xffffff                               // 000000006718: 8652FF52 00FFFFFF
	s_cmp_lt_u32 s82, s66                                      // 000000006720: BF0A4252
	s_cselect_b32 s21, s36, s60                                // 000000006724: 85153C24
	s_mov_b64 exec, s[20:21]                                   // 000000006728: BEFE0114
	global_atomic_add_f32 v6, v78, s[8:9] offset:8             // 00000000672C: DD348008 00084E06
	s_mov_b64 exec, s[36:37]                                   // 000000006734: BEFE0124
	v_mov_b32_e32 v6, v59                                      // 000000006738: 7E0C033B
	s_mov_b64 s[60:61], 0                                      // 00000000673C: BEBC0180
	v_readlane_b32 s82, v3, 10                                 // 000000006740: D2890052 00011503
	s_and_b32 s82, s82, 0xffffff                               // 000000006748: 8652FF52 00FFFFFF
	s_cmp_lt_u32 s82, s66                                      // 000000006750: BF0A4252
	s_cselect_b32 s20, s36, s60                                // 000000006754: 85143C24
	v_readlane_b32 s82, v3, 11                                 // 000000006758: D2890052 00011703
	s_and_b32 s82, s82, 0xffffff                               // 000000006760: 8652FF52 00FFFFFF
	s_cmp_lt_u32 s82, s66                                      // 000000006768: BF0A4252
	s_cselect_b32 s21, s36, s60                                // 00000000676C: 85153C24
	s_mov_b64 exec, s[20:21]                                   // 000000006770: BEFE0114
	global_atomic_add_f32 v6, v79, s[8:9] offset:8             // 000000006774: DD348008 00084F06
	s_mov_b64 exec, s[36:37]                                   // 00000000677C: BEFE0124
	v_mov_b32_e32 v6, v60                                      // 000000006780: 7E0C033C
	s_mov_b64 s[60:61], 0                                      // 000000006784: BEBC0180
	v_readlane_b32 s82, v3, 12                                 // 000000006788: D2890052 00011903
	s_and_b32 s82, s82, 0xffffff                               // 000000006790: 8652FF52 00FFFFFF
	s_cmp_lt_u32 s82, s66                                      // 000000006798: BF0A4252
	s_cselect_b32 s20, s36, s60                                // 00000000679C: 85143C24
	v_readlane_b32 s82, v3, 13                                 // 0000000067A0: D2890052 00011B03
	s_and_b32 s82, s82, 0xffffff                               // 0000000067A8: 8652FF52 00FFFFFF
	s_cmp_lt_u32 s82, s66                                      // 0000000067B0: BF0A4252
	s_cselect_b32 s21, s36, s60                                // 0000000067B4: 85153C24
	s_mov_b64 exec, s[20:21]                                   // 0000000067B8: BEFE0114
	global_atomic_add_f32 v6, v82, s[8:9] offset:8             // 0000000067BC: DD348008 00085206
	s_mov_b64 exec, s[36:37]                                   // 0000000067C4: BEFE0124
	v_mov_b32_e32 v6, v61                                      // 0000000067C8: 7E0C033D
	s_mov_b64 s[60:61], 0                                      // 0000000067CC: BEBC0180
	v_readlane_b32 s82, v3, 14                                 // 0000000067D0: D2890052 00011D03
	s_and_b32 s82, s82, 0xffffff                               // 0000000067D8: 8652FF52 00FFFFFF
	s_cmp_lt_u32 s82, s66                                      // 0000000067E0: BF0A4252
	s_cselect_b32 s20, s36, s60                                // 0000000067E4: 85143C24
	v_readlane_b32 s82, v3, 15                                 // 0000000067E8: D2890052 00011F03
	s_and_b32 s82, s82, 0xffffff                               // 0000000067F0: 8652FF52 00FFFFFF
	s_cmp_lt_u32 s82, s66                                      // 0000000067F8: BF0A4252
	s_cselect_b32 s21, s36, s60                                // 0000000067FC: 85153C24
	s_mov_b64 exec, s[20:21]                                   // 000000006800: BEFE0114
	global_atomic_add_f32 v6, v83, s[8:9] offset:8             // 000000006804: DD348008 00085306
	s_mov_b64 exec, s[36:37]                                   // 00000000680C: BEFE0124
	v_mov_b32_e32 v6, v62                                      // 000000006810: 7E0C033E
	s_mov_b64 s[60:61], 0                                      // 000000006814: BEBC0180
	v_readlane_b32 s82, v3, 16                                 // 000000006818: D2890052 00012103
	s_and_b32 s82, s82, 0xffffff                               // 000000006820: 8652FF52 00FFFFFF
	s_cmp_lt_u32 s82, s66                                      // 000000006828: BF0A4252
	s_cselect_b32 s20, s36, s60                                // 00000000682C: 85143C24
	v_readlane_b32 s82, v3, 17                                 // 000000006830: D2890052 00012303
	s_and_b32 s82, s82, 0xffffff                               // 000000006838: 8652FF52 00FFFFFF
	s_cmp_lt_u32 s82, s66                                      // 000000006840: BF0A4252
	s_cselect_b32 s21, s36, s60                                // 000000006844: 85153C24
	s_mov_b64 exec, s[20:21]                                   // 000000006848: BEFE0114
	global_atomic_add_f32 v6, v86, s[8:9] offset:8             // 00000000684C: DD348008 00085606
	s_mov_b64 exec, s[36:37]                                   // 000000006854: BEFE0124
	v_mov_b32_e32 v6, v63                                      // 000000006858: 7E0C033F
	s_mov_b64 s[60:61], 0                                      // 00000000685C: BEBC0180
	v_readlane_b32 s82, v3, 18                                 // 000000006860: D2890052 00012503
	s_and_b32 s82, s82, 0xffffff                               // 000000006868: 8652FF52 00FFFFFF
	s_cmp_lt_u32 s82, s66                                      // 000000006870: BF0A4252
	s_cselect_b32 s20, s36, s60                                // 000000006874: 85143C24
	v_readlane_b32 s82, v3, 19                                 // 000000006878: D2890052 00012703
	s_and_b32 s82, s82, 0xffffff                               // 000000006880: 8652FF52 00FFFFFF
	s_cmp_lt_u32 s82, s66                                      // 000000006888: BF0A4252
	s_cselect_b32 s21, s36, s60                                // 00000000688C: 85153C24
	s_mov_b64 exec, s[20:21]                                   // 000000006890: BEFE0114
	global_atomic_add_f32 v6, v87, s[8:9] offset:8             // 000000006894: DD348008 00085706
	s_mov_b64 exec, s[36:37]                                   // 00000000689C: BEFE0124
	v_mov_b32_e32 v6, v64                                      // 0000000068A0: 7E0C0340
	s_mov_b64 s[60:61], 0                                      // 0000000068A4: BEBC0180
	v_readlane_b32 s82, v3, 20                                 // 0000000068A8: D2890052 00012903
	s_and_b32 s82, s82, 0xffffff                               // 0000000068B0: 8652FF52 00FFFFFF
	s_cmp_lt_u32 s82, s66                                      // 0000000068B8: BF0A4252
	s_cselect_b32 s20, s36, s60                                // 0000000068BC: 85143C24
	v_readlane_b32 s82, v3, 21                                 // 0000000068C0: D2890052 00012B03
	s_and_b32 s82, s82, 0xffffff                               // 0000000068C8: 8652FF52 00FFFFFF
	s_cmp_lt_u32 s82, s66                                      // 0000000068D0: BF0A4252
	s_cselect_b32 s21, s36, s60                                // 0000000068D4: 85153C24
	s_mov_b64 exec, s[20:21]                                   // 0000000068D8: BEFE0114
	global_atomic_add_f32 v6, v90, s[8:9] offset:8             // 0000000068DC: DD348008 00085A06
	s_mov_b64 exec, s[36:37]                                   // 0000000068E4: BEFE0124
	v_mov_b32_e32 v6, v65                                      // 0000000068E8: 7E0C0341
	s_mov_b64 s[60:61], 0                                      // 0000000068EC: BEBC0180
	v_readlane_b32 s82, v3, 22                                 // 0000000068F0: D2890052 00012D03
	s_and_b32 s82, s82, 0xffffff                               // 0000000068F8: 8652FF52 00FFFFFF
	s_cmp_lt_u32 s82, s66                                      // 000000006900: BF0A4252
	s_cselect_b32 s20, s36, s60                                // 000000006904: 85143C24
	v_readlane_b32 s82, v3, 23                                 // 000000006908: D2890052 00012F03
	s_and_b32 s82, s82, 0xffffff                               // 000000006910: 8652FF52 00FFFFFF
	s_cmp_lt_u32 s82, s66                                      // 000000006918: BF0A4252
	s_cselect_b32 s21, s36, s60                                // 00000000691C: 85153C24
	s_mov_b64 exec, s[20:21]                                   // 000000006920: BEFE0114
	global_atomic_add_f32 v6, v91, s[8:9] offset:8             // 000000006924: DD348008 00085B06
	s_mov_b64 exec, s[36:37]                                   // 00000000692C: BEFE0124
	ds_write_b64 v20, v[92:93]                                 // 000000006930: D89A0000 00005C14
	ds_write_b64 v20, v[96:97] offset:2176                     // 000000006938: D89A0880 00006014
	ds_write_b64 v20, v[100:101] offset:4352                   // 000000006940: D89A1100 00006414
	ds_write_b64 v20, v[104:105] offset:6528                   // 000000006948: D89A1980 00006814
	ds_write_b64 v20, v[108:109] offset:8704                   // 000000006950: D89A2200 00006C14
	ds_write_b64 v20, v[112:113] offset:10880                  // 000000006958: D89A2A80 00007014
	s_waitcnt lgkmcnt(0)                                       // 000000006960: BF8CC07F
	s_barrier                                                  // 000000006964: BF8A0000
	ds_read_b32 v92, v21                                       // 000000006968: D86C0000 5C000015
	ds_read_b32 v93, v21 offset:64                             // 000000006970: D86C0040 5D000015
	ds_read_b32 v96, v21 offset:2176                           // 000000006978: D86C0880 60000015
	ds_read_b32 v97, v21 offset:2240                           // 000000006980: D86C08C0 61000015
	ds_read_b32 v100, v21 offset:4352                          // 000000006988: D86C1100 64000015
	ds_read_b32 v101, v21 offset:4416                          // 000000006990: D86C1140 65000015
	ds_read_b32 v104, v21 offset:6528                          // 000000006998: D86C1980 68000015
	ds_read_b32 v105, v21 offset:6592                          // 0000000069A0: D86C19C0 69000015
	ds_read_b32 v108, v21 offset:8704                          // 0000000069A8: D86C2200 6C000015
	ds_read_b32 v109, v21 offset:8768                          // 0000000069B0: D86C2240 6D000015
	ds_read_b32 v112, v21 offset:10880                         // 0000000069B8: D86C2A80 70000015
	ds_read_b32 v113, v21 offset:10944                         // 0000000069C0: D86C2AC0 71000015
	s_mul_i32 s60, s65, 4                                      // 0000000069C8: 923C8441
	s_add_u32 s8, s60, s8                                      // 0000000069CC: 8008083C
	s_addc_u32 s9, 0, s9                                       // 0000000069D0: 82090980
	s_waitcnt lgkmcnt(0)                                       // 0000000069D4: BF8CC07F
	v_mov_b32_e32 v7, 0                                        // 0000000069D8: 7E0E0280
	s_mov_b64 exec, s[36:37]                                   // 0000000069DC: BEFE0124
	v_mov_b32_e32 v6, v54                                      // 0000000069E0: 7E0C0336
	s_mov_b64 s[60:61], 0                                      // 0000000069E4: BEBC0180
	v_readlane_b32 s82, v3, 0                                  // 0000000069E8: D2890052 00010103
	s_and_b32 s82, s82, 0xffffff                               // 0000000069F0: 8652FF52 00FFFFFF
	s_cmp_lt_u32 s82, s66                                      // 0000000069F8: BF0A4252
	s_cselect_b32 s20, s36, s60                                // 0000000069FC: 85143C24
	v_readlane_b32 s82, v3, 1                                  // 000000006A00: D2890052 00010303
	s_and_b32 s82, s82, 0xffffff                               // 000000006A08: 8652FF52 00FFFFFF
	s_cmp_lt_u32 s82, s66                                      // 000000006A10: BF0A4252
	s_cselect_b32 s21, s36, s60                                // 000000006A14: 85153C24
	s_mov_b64 exec, s[20:21]                                   // 000000006A18: BEFE0114
	global_atomic_add_f32 v6, v92, s[8:9]                      // 000000006A1C: DD348000 00085C06
	s_mov_b64 exec, s[36:37]                                   // 000000006A24: BEFE0124
	v_mov_b32_e32 v6, v55                                      // 000000006A28: 7E0C0337
	s_mov_b64 s[60:61], 0                                      // 000000006A2C: BEBC0180
	v_readlane_b32 s82, v3, 2                                  // 000000006A30: D2890052 00010503
	s_and_b32 s82, s82, 0xffffff                               // 000000006A38: 8652FF52 00FFFFFF
	s_cmp_lt_u32 s82, s66                                      // 000000006A40: BF0A4252
	s_cselect_b32 s20, s36, s60                                // 000000006A44: 85143C24
	v_readlane_b32 s82, v3, 3                                  // 000000006A48: D2890052 00010703
	s_and_b32 s82, s82, 0xffffff                               // 000000006A50: 8652FF52 00FFFFFF
	s_cmp_lt_u32 s82, s66                                      // 000000006A58: BF0A4252
	s_cselect_b32 s21, s36, s60                                // 000000006A5C: 85153C24
	s_mov_b64 exec, s[20:21]                                   // 000000006A60: BEFE0114
	global_atomic_add_f32 v6, v93, s[8:9]                      // 000000006A64: DD348000 00085D06
	s_mov_b64 exec, s[36:37]                                   // 000000006A6C: BEFE0124
	v_mov_b32_e32 v6, v56                                      // 000000006A70: 7E0C0338
	s_mov_b64 s[60:61], 0                                      // 000000006A74: BEBC0180
	v_readlane_b32 s82, v3, 4                                  // 000000006A78: D2890052 00010903
	s_and_b32 s82, s82, 0xffffff                               // 000000006A80: 8652FF52 00FFFFFF
	s_cmp_lt_u32 s82, s66                                      // 000000006A88: BF0A4252
	s_cselect_b32 s20, s36, s60                                // 000000006A8C: 85143C24
	v_readlane_b32 s82, v3, 5                                  // 000000006A90: D2890052 00010B03
	s_and_b32 s82, s82, 0xffffff                               // 000000006A98: 8652FF52 00FFFFFF
	s_cmp_lt_u32 s82, s66                                      // 000000006AA0: BF0A4252
	s_cselect_b32 s21, s36, s60                                // 000000006AA4: 85153C24
	s_mov_b64 exec, s[20:21]                                   // 000000006AA8: BEFE0114
	global_atomic_add_f32 v6, v96, s[8:9]                      // 000000006AAC: DD348000 00086006
	s_mov_b64 exec, s[36:37]                                   // 000000006AB4: BEFE0124
	v_mov_b32_e32 v6, v57                                      // 000000006AB8: 7E0C0339
	s_mov_b64 s[60:61], 0                                      // 000000006ABC: BEBC0180
	v_readlane_b32 s82, v3, 6                                  // 000000006AC0: D2890052 00010D03
	s_and_b32 s82, s82, 0xffffff                               // 000000006AC8: 8652FF52 00FFFFFF
	s_cmp_lt_u32 s82, s66                                      // 000000006AD0: BF0A4252
	s_cselect_b32 s20, s36, s60                                // 000000006AD4: 85143C24
	v_readlane_b32 s82, v3, 7                                  // 000000006AD8: D2890052 00010F03
	s_and_b32 s82, s82, 0xffffff                               // 000000006AE0: 8652FF52 00FFFFFF
	s_cmp_lt_u32 s82, s66                                      // 000000006AE8: BF0A4252
	s_cselect_b32 s21, s36, s60                                // 000000006AEC: 85153C24
	s_mov_b64 exec, s[20:21]                                   // 000000006AF0: BEFE0114
	global_atomic_add_f32 v6, v97, s[8:9]                      // 000000006AF4: DD348000 00086106
	s_mov_b64 exec, s[36:37]                                   // 000000006AFC: BEFE0124
	v_mov_b32_e32 v6, v58                                      // 000000006B00: 7E0C033A
	s_mov_b64 s[60:61], 0                                      // 000000006B04: BEBC0180
	v_readlane_b32 s82, v3, 8                                  // 000000006B08: D2890052 00011103
	s_and_b32 s82, s82, 0xffffff                               // 000000006B10: 8652FF52 00FFFFFF
	s_cmp_lt_u32 s82, s66                                      // 000000006B18: BF0A4252
	s_cselect_b32 s20, s36, s60                                // 000000006B1C: 85143C24
	v_readlane_b32 s82, v3, 9                                  // 000000006B20: D2890052 00011303
	s_and_b32 s82, s82, 0xffffff                               // 000000006B28: 8652FF52 00FFFFFF
	s_cmp_lt_u32 s82, s66                                      // 000000006B30: BF0A4252
	s_cselect_b32 s21, s36, s60                                // 000000006B34: 85153C24
	s_mov_b64 exec, s[20:21]                                   // 000000006B38: BEFE0114
	global_atomic_add_f32 v6, v100, s[8:9]                     // 000000006B3C: DD348000 00086406
	s_mov_b64 exec, s[36:37]                                   // 000000006B44: BEFE0124
	v_mov_b32_e32 v6, v59                                      // 000000006B48: 7E0C033B
	s_mov_b64 s[60:61], 0                                      // 000000006B4C: BEBC0180
	v_readlane_b32 s82, v3, 10                                 // 000000006B50: D2890052 00011503
	s_and_b32 s82, s82, 0xffffff                               // 000000006B58: 8652FF52 00FFFFFF
	s_cmp_lt_u32 s82, s66                                      // 000000006B60: BF0A4252
	s_cselect_b32 s20, s36, s60                                // 000000006B64: 85143C24
	v_readlane_b32 s82, v3, 11                                 // 000000006B68: D2890052 00011703
	s_and_b32 s82, s82, 0xffffff                               // 000000006B70: 8652FF52 00FFFFFF
	s_cmp_lt_u32 s82, s66                                      // 000000006B78: BF0A4252
	s_cselect_b32 s21, s36, s60                                // 000000006B7C: 85153C24
	s_mov_b64 exec, s[20:21]                                   // 000000006B80: BEFE0114
	global_atomic_add_f32 v6, v101, s[8:9]                     // 000000006B84: DD348000 00086506
	s_mov_b64 exec, s[36:37]                                   // 000000006B8C: BEFE0124
	v_mov_b32_e32 v6, v60                                      // 000000006B90: 7E0C033C
	s_mov_b64 s[60:61], 0                                      // 000000006B94: BEBC0180
	v_readlane_b32 s82, v3, 12                                 // 000000006B98: D2890052 00011903
	s_and_b32 s82, s82, 0xffffff                               // 000000006BA0: 8652FF52 00FFFFFF
	s_cmp_lt_u32 s82, s66                                      // 000000006BA8: BF0A4252
	s_cselect_b32 s20, s36, s60                                // 000000006BAC: 85143C24
	v_readlane_b32 s82, v3, 13                                 // 000000006BB0: D2890052 00011B03
	s_and_b32 s82, s82, 0xffffff                               // 000000006BB8: 8652FF52 00FFFFFF
	s_cmp_lt_u32 s82, s66                                      // 000000006BC0: BF0A4252
	s_cselect_b32 s21, s36, s60                                // 000000006BC4: 85153C24
	s_mov_b64 exec, s[20:21]                                   // 000000006BC8: BEFE0114
	global_atomic_add_f32 v6, v104, s[8:9]                     // 000000006BCC: DD348000 00086806
	s_mov_b64 exec, s[36:37]                                   // 000000006BD4: BEFE0124
	v_mov_b32_e32 v6, v61                                      // 000000006BD8: 7E0C033D
	s_mov_b64 s[60:61], 0                                      // 000000006BDC: BEBC0180
	v_readlane_b32 s82, v3, 14                                 // 000000006BE0: D2890052 00011D03
	s_and_b32 s82, s82, 0xffffff                               // 000000006BE8: 8652FF52 00FFFFFF
	s_cmp_lt_u32 s82, s66                                      // 000000006BF0: BF0A4252
	s_cselect_b32 s20, s36, s60                                // 000000006BF4: 85143C24
	v_readlane_b32 s82, v3, 15                                 // 000000006BF8: D2890052 00011F03
	s_and_b32 s82, s82, 0xffffff                               // 000000006C00: 8652FF52 00FFFFFF
	s_cmp_lt_u32 s82, s66                                      // 000000006C08: BF0A4252
	s_cselect_b32 s21, s36, s60                                // 000000006C0C: 85153C24
	s_mov_b64 exec, s[20:21]                                   // 000000006C10: BEFE0114
	global_atomic_add_f32 v6, v105, s[8:9]                     // 000000006C14: DD348000 00086906
	s_mov_b64 exec, s[36:37]                                   // 000000006C1C: BEFE0124
	v_mov_b32_e32 v6, v62                                      // 000000006C20: 7E0C033E
	s_mov_b64 s[60:61], 0                                      // 000000006C24: BEBC0180
	v_readlane_b32 s82, v3, 16                                 // 000000006C28: D2890052 00012103
	s_and_b32 s82, s82, 0xffffff                               // 000000006C30: 8652FF52 00FFFFFF
	s_cmp_lt_u32 s82, s66                                      // 000000006C38: BF0A4252
	s_cselect_b32 s20, s36, s60                                // 000000006C3C: 85143C24
	v_readlane_b32 s82, v3, 17                                 // 000000006C40: D2890052 00012303
	s_and_b32 s82, s82, 0xffffff                               // 000000006C48: 8652FF52 00FFFFFF
	s_cmp_lt_u32 s82, s66                                      // 000000006C50: BF0A4252
	s_cselect_b32 s21, s36, s60                                // 000000006C54: 85153C24
	s_mov_b64 exec, s[20:21]                                   // 000000006C58: BEFE0114
	global_atomic_add_f32 v6, v108, s[8:9]                     // 000000006C5C: DD348000 00086C06
	s_mov_b64 exec, s[36:37]                                   // 000000006C64: BEFE0124
	v_mov_b32_e32 v6, v63                                      // 000000006C68: 7E0C033F
	s_mov_b64 s[60:61], 0                                      // 000000006C6C: BEBC0180
	v_readlane_b32 s82, v3, 18                                 // 000000006C70: D2890052 00012503
	s_and_b32 s82, s82, 0xffffff                               // 000000006C78: 8652FF52 00FFFFFF
	s_cmp_lt_u32 s82, s66                                      // 000000006C80: BF0A4252
	s_cselect_b32 s20, s36, s60                                // 000000006C84: 85143C24
	v_readlane_b32 s82, v3, 19                                 // 000000006C88: D2890052 00012703
	s_and_b32 s82, s82, 0xffffff                               // 000000006C90: 8652FF52 00FFFFFF
	s_cmp_lt_u32 s82, s66                                      // 000000006C98: BF0A4252
	s_cselect_b32 s21, s36, s60                                // 000000006C9C: 85153C24
	s_mov_b64 exec, s[20:21]                                   // 000000006CA0: BEFE0114
	global_atomic_add_f32 v6, v109, s[8:9]                     // 000000006CA4: DD348000 00086D06
	s_mov_b64 exec, s[36:37]                                   // 000000006CAC: BEFE0124
	v_mov_b32_e32 v6, v64                                      // 000000006CB0: 7E0C0340
	s_mov_b64 s[60:61], 0                                      // 000000006CB4: BEBC0180
	v_readlane_b32 s82, v3, 20                                 // 000000006CB8: D2890052 00012903
	s_and_b32 s82, s82, 0xffffff                               // 000000006CC0: 8652FF52 00FFFFFF
	s_cmp_lt_u32 s82, s66                                      // 000000006CC8: BF0A4252
	s_cselect_b32 s20, s36, s60                                // 000000006CCC: 85143C24
	v_readlane_b32 s82, v3, 21                                 // 000000006CD0: D2890052 00012B03
	s_and_b32 s82, s82, 0xffffff                               // 000000006CD8: 8652FF52 00FFFFFF
	s_cmp_lt_u32 s82, s66                                      // 000000006CE0: BF0A4252
	s_cselect_b32 s21, s36, s60                                // 000000006CE4: 85153C24
	s_mov_b64 exec, s[20:21]                                   // 000000006CE8: BEFE0114
	global_atomic_add_f32 v6, v112, s[8:9]                     // 000000006CEC: DD348000 00087006
	s_mov_b64 exec, s[36:37]                                   // 000000006CF4: BEFE0124
	v_mov_b32_e32 v6, v65                                      // 000000006CF8: 7E0C0341
	s_mov_b64 s[60:61], 0                                      // 000000006CFC: BEBC0180
	v_readlane_b32 s82, v3, 22                                 // 000000006D00: D2890052 00012D03
	s_and_b32 s82, s82, 0xffffff                               // 000000006D08: 8652FF52 00FFFFFF
	s_cmp_lt_u32 s82, s66                                      // 000000006D10: BF0A4252
	s_cselect_b32 s20, s36, s60                                // 000000006D14: 85143C24
	v_readlane_b32 s82, v3, 23                                 // 000000006D18: D2890052 00012F03
	s_and_b32 s82, s82, 0xffffff                               // 000000006D20: 8652FF52 00FFFFFF
	s_cmp_lt_u32 s82, s66                                      // 000000006D28: BF0A4252
	s_cselect_b32 s21, s36, s60                                // 000000006D2C: 85153C24
	s_mov_b64 exec, s[20:21]                                   // 000000006D30: BEFE0114
	global_atomic_add_f32 v6, v113, s[8:9]                     // 000000006D34: DD348000 00087106
	s_mov_b64 exec, s[36:37]                                   // 000000006D3C: BEFE0124
	ds_write_b64 v20, v[94:95]                                 // 000000006D40: D89A0000 00005E14
	ds_write_b64 v20, v[98:99] offset:2176                     // 000000006D48: D89A0880 00006214
	ds_write_b64 v20, v[102:103] offset:4352                   // 000000006D50: D89A1100 00006614
	ds_write_b64 v20, v[106:107] offset:6528                   // 000000006D58: D89A1980 00006A14
	ds_write_b64 v20, v[110:111] offset:8704                   // 000000006D60: D89A2200 00006E14
	ds_write_b64 v20, v[114:115] offset:10880                  // 000000006D68: D89A2A80 00007214
	s_waitcnt lgkmcnt(0)                                       // 000000006D70: BF8CC07F
	s_barrier                                                  // 000000006D74: BF8A0000
	ds_read_b32 v94, v21                                       // 000000006D78: D86C0000 5E000015
	ds_read_b32 v95, v21 offset:64                             // 000000006D80: D86C0040 5F000015
	ds_read_b32 v98, v21 offset:2176                           // 000000006D88: D86C0880 62000015
	ds_read_b32 v99, v21 offset:2240                           // 000000006D90: D86C08C0 63000015
	ds_read_b32 v102, v21 offset:4352                          // 000000006D98: D86C1100 66000015
	ds_read_b32 v103, v21 offset:4416                          // 000000006DA0: D86C1140 67000015
	ds_read_b32 v106, v21 offset:6528                          // 000000006DA8: D86C1980 6A000015
	ds_read_b32 v107, v21 offset:6592                          // 000000006DB0: D86C19C0 6B000015
	ds_read_b32 v110, v21 offset:8704                          // 000000006DB8: D86C2200 6E000015
	ds_read_b32 v111, v21 offset:8768                          // 000000006DC0: D86C2240 6F000015
	ds_read_b32 v114, v21 offset:10880                         // 000000006DC8: D86C2A80 72000015
	ds_read_b32 v115, v21 offset:10944                         // 000000006DD0: D86C2AC0 73000015
	s_waitcnt lgkmcnt(0)                                       // 000000006DD8: BF8CC07F
	v_mov_b32_e32 v7, 0                                        // 000000006DDC: 7E0E0280
	s_mov_b64 exec, s[36:37]                                   // 000000006DE0: BEFE0124
	v_mov_b32_e32 v6, v54                                      // 000000006DE4: 7E0C0336
	s_mov_b64 s[60:61], 0                                      // 000000006DE8: BEBC0180
	v_readlane_b32 s82, v3, 0                                  // 000000006DEC: D2890052 00010103
	s_and_b32 s82, s82, 0xffffff                               // 000000006DF4: 8652FF52 00FFFFFF
	s_cmp_lt_u32 s82, s66                                      // 000000006DFC: BF0A4252
	s_cselect_b32 s20, s36, s60                                // 000000006E00: 85143C24
	v_readlane_b32 s82, v3, 1                                  // 000000006E04: D2890052 00010303
	s_and_b32 s82, s82, 0xffffff                               // 000000006E0C: 8652FF52 00FFFFFF
	s_cmp_lt_u32 s82, s66                                      // 000000006E14: BF0A4252
	s_cselect_b32 s21, s36, s60                                // 000000006E18: 85153C24
	s_mov_b64 exec, s[20:21]                                   // 000000006E1C: BEFE0114
	global_atomic_add_f32 v6, v94, s[8:9] offset:8             // 000000006E20: DD348008 00085E06
	s_mov_b64 exec, s[36:37]                                   // 000000006E28: BEFE0124
	v_mov_b32_e32 v6, v55                                      // 000000006E2C: 7E0C0337
	s_mov_b64 s[60:61], 0                                      // 000000006E30: BEBC0180
	v_readlane_b32 s82, v3, 2                                  // 000000006E34: D2890052 00010503
	s_and_b32 s82, s82, 0xffffff                               // 000000006E3C: 8652FF52 00FFFFFF
	s_cmp_lt_u32 s82, s66                                      // 000000006E44: BF0A4252
	s_cselect_b32 s20, s36, s60                                // 000000006E48: 85143C24
	v_readlane_b32 s82, v3, 3                                  // 000000006E4C: D2890052 00010703
	s_and_b32 s82, s82, 0xffffff                               // 000000006E54: 8652FF52 00FFFFFF
	s_cmp_lt_u32 s82, s66                                      // 000000006E5C: BF0A4252
	s_cselect_b32 s21, s36, s60                                // 000000006E60: 85153C24
	s_mov_b64 exec, s[20:21]                                   // 000000006E64: BEFE0114
	global_atomic_add_f32 v6, v95, s[8:9] offset:8             // 000000006E68: DD348008 00085F06
	s_mov_b64 exec, s[36:37]                                   // 000000006E70: BEFE0124
	v_mov_b32_e32 v6, v56                                      // 000000006E74: 7E0C0338
	s_mov_b64 s[60:61], 0                                      // 000000006E78: BEBC0180
	v_readlane_b32 s82, v3, 4                                  // 000000006E7C: D2890052 00010903
	s_and_b32 s82, s82, 0xffffff                               // 000000006E84: 8652FF52 00FFFFFF
	s_cmp_lt_u32 s82, s66                                      // 000000006E8C: BF0A4252
	s_cselect_b32 s20, s36, s60                                // 000000006E90: 85143C24
	v_readlane_b32 s82, v3, 5                                  // 000000006E94: D2890052 00010B03
	s_and_b32 s82, s82, 0xffffff                               // 000000006E9C: 8652FF52 00FFFFFF
	s_cmp_lt_u32 s82, s66                                      // 000000006EA4: BF0A4252
	s_cselect_b32 s21, s36, s60                                // 000000006EA8: 85153C24
	s_mov_b64 exec, s[20:21]                                   // 000000006EAC: BEFE0114
	global_atomic_add_f32 v6, v98, s[8:9] offset:8             // 000000006EB0: DD348008 00086206
	s_mov_b64 exec, s[36:37]                                   // 000000006EB8: BEFE0124
	v_mov_b32_e32 v6, v57                                      // 000000006EBC: 7E0C0339
	s_mov_b64 s[60:61], 0                                      // 000000006EC0: BEBC0180
	v_readlane_b32 s82, v3, 6                                  // 000000006EC4: D2890052 00010D03
	s_and_b32 s82, s82, 0xffffff                               // 000000006ECC: 8652FF52 00FFFFFF
	s_cmp_lt_u32 s82, s66                                      // 000000006ED4: BF0A4252
	s_cselect_b32 s20, s36, s60                                // 000000006ED8: 85143C24
	v_readlane_b32 s82, v3, 7                                  // 000000006EDC: D2890052 00010F03
	s_and_b32 s82, s82, 0xffffff                               // 000000006EE4: 8652FF52 00FFFFFF
	s_cmp_lt_u32 s82, s66                                      // 000000006EEC: BF0A4252
	s_cselect_b32 s21, s36, s60                                // 000000006EF0: 85153C24
	s_mov_b64 exec, s[20:21]                                   // 000000006EF4: BEFE0114
	global_atomic_add_f32 v6, v99, s[8:9] offset:8             // 000000006EF8: DD348008 00086306
	s_mov_b64 exec, s[36:37]                                   // 000000006F00: BEFE0124
	v_mov_b32_e32 v6, v58                                      // 000000006F04: 7E0C033A
	s_mov_b64 s[60:61], 0                                      // 000000006F08: BEBC0180
	v_readlane_b32 s82, v3, 8                                  // 000000006F0C: D2890052 00011103
	s_and_b32 s82, s82, 0xffffff                               // 000000006F14: 8652FF52 00FFFFFF
	s_cmp_lt_u32 s82, s66                                      // 000000006F1C: BF0A4252
	s_cselect_b32 s20, s36, s60                                // 000000006F20: 85143C24
	v_readlane_b32 s82, v3, 9                                  // 000000006F24: D2890052 00011303
	s_and_b32 s82, s82, 0xffffff                               // 000000006F2C: 8652FF52 00FFFFFF
	s_cmp_lt_u32 s82, s66                                      // 000000006F34: BF0A4252
	s_cselect_b32 s21, s36, s60                                // 000000006F38: 85153C24
	s_mov_b64 exec, s[20:21]                                   // 000000006F3C: BEFE0114
	global_atomic_add_f32 v6, v102, s[8:9] offset:8            // 000000006F40: DD348008 00086606
	s_mov_b64 exec, s[36:37]                                   // 000000006F48: BEFE0124
	v_mov_b32_e32 v6, v59                                      // 000000006F4C: 7E0C033B
	s_mov_b64 s[60:61], 0                                      // 000000006F50: BEBC0180
	v_readlane_b32 s82, v3, 10                                 // 000000006F54: D2890052 00011503
	s_and_b32 s82, s82, 0xffffff                               // 000000006F5C: 8652FF52 00FFFFFF
	s_cmp_lt_u32 s82, s66                                      // 000000006F64: BF0A4252
	s_cselect_b32 s20, s36, s60                                // 000000006F68: 85143C24
	v_readlane_b32 s82, v3, 11                                 // 000000006F6C: D2890052 00011703
	s_and_b32 s82, s82, 0xffffff                               // 000000006F74: 8652FF52 00FFFFFF
	s_cmp_lt_u32 s82, s66                                      // 000000006F7C: BF0A4252
	s_cselect_b32 s21, s36, s60                                // 000000006F80: 85153C24
	s_mov_b64 exec, s[20:21]                                   // 000000006F84: BEFE0114
	global_atomic_add_f32 v6, v103, s[8:9] offset:8            // 000000006F88: DD348008 00086706
	s_mov_b64 exec, s[36:37]                                   // 000000006F90: BEFE0124
	v_mov_b32_e32 v6, v60                                      // 000000006F94: 7E0C033C
	s_mov_b64 s[60:61], 0                                      // 000000006F98: BEBC0180
	v_readlane_b32 s82, v3, 12                                 // 000000006F9C: D2890052 00011903
	s_and_b32 s82, s82, 0xffffff                               // 000000006FA4: 8652FF52 00FFFFFF
	s_cmp_lt_u32 s82, s66                                      // 000000006FAC: BF0A4252
	s_cselect_b32 s20, s36, s60                                // 000000006FB0: 85143C24
	v_readlane_b32 s82, v3, 13                                 // 000000006FB4: D2890052 00011B03
	s_and_b32 s82, s82, 0xffffff                               // 000000006FBC: 8652FF52 00FFFFFF
	s_cmp_lt_u32 s82, s66                                      // 000000006FC4: BF0A4252
	s_cselect_b32 s21, s36, s60                                // 000000006FC8: 85153C24
	s_mov_b64 exec, s[20:21]                                   // 000000006FCC: BEFE0114
	global_atomic_add_f32 v6, v106, s[8:9] offset:8            // 000000006FD0: DD348008 00086A06
	s_mov_b64 exec, s[36:37]                                   // 000000006FD8: BEFE0124
	v_mov_b32_e32 v6, v61                                      // 000000006FDC: 7E0C033D
	s_mov_b64 s[60:61], 0                                      // 000000006FE0: BEBC0180
	v_readlane_b32 s82, v3, 14                                 // 000000006FE4: D2890052 00011D03
	s_and_b32 s82, s82, 0xffffff                               // 000000006FEC: 8652FF52 00FFFFFF
	s_cmp_lt_u32 s82, s66                                      // 000000006FF4: BF0A4252
	s_cselect_b32 s20, s36, s60                                // 000000006FF8: 85143C24
	v_readlane_b32 s82, v3, 15                                 // 000000006FFC: D2890052 00011F03
	s_and_b32 s82, s82, 0xffffff                               // 000000007004: 8652FF52 00FFFFFF
	s_cmp_lt_u32 s82, s66                                      // 00000000700C: BF0A4252
	s_cselect_b32 s21, s36, s60                                // 000000007010: 85153C24
	s_mov_b64 exec, s[20:21]                                   // 000000007014: BEFE0114
	global_atomic_add_f32 v6, v107, s[8:9] offset:8            // 000000007018: DD348008 00086B06
	s_mov_b64 exec, s[36:37]                                   // 000000007020: BEFE0124
	v_mov_b32_e32 v6, v62                                      // 000000007024: 7E0C033E
	s_mov_b64 s[60:61], 0                                      // 000000007028: BEBC0180
	v_readlane_b32 s82, v3, 16                                 // 00000000702C: D2890052 00012103
	s_and_b32 s82, s82, 0xffffff                               // 000000007034: 8652FF52 00FFFFFF
	s_cmp_lt_u32 s82, s66                                      // 00000000703C: BF0A4252
	s_cselect_b32 s20, s36, s60                                // 000000007040: 85143C24
	v_readlane_b32 s82, v3, 17                                 // 000000007044: D2890052 00012303
	s_and_b32 s82, s82, 0xffffff                               // 00000000704C: 8652FF52 00FFFFFF
	s_cmp_lt_u32 s82, s66                                      // 000000007054: BF0A4252
	s_cselect_b32 s21, s36, s60                                // 000000007058: 85153C24
	s_mov_b64 exec, s[20:21]                                   // 00000000705C: BEFE0114
	global_atomic_add_f32 v6, v110, s[8:9] offset:8            // 000000007060: DD348008 00086E06
	s_mov_b64 exec, s[36:37]                                   // 000000007068: BEFE0124
	v_mov_b32_e32 v6, v63                                      // 00000000706C: 7E0C033F
	s_mov_b64 s[60:61], 0                                      // 000000007070: BEBC0180
	v_readlane_b32 s82, v3, 18                                 // 000000007074: D2890052 00012503
	s_and_b32 s82, s82, 0xffffff                               // 00000000707C: 8652FF52 00FFFFFF
	s_cmp_lt_u32 s82, s66                                      // 000000007084: BF0A4252
	s_cselect_b32 s20, s36, s60                                // 000000007088: 85143C24
	v_readlane_b32 s82, v3, 19                                 // 00000000708C: D2890052 00012703
	s_and_b32 s82, s82, 0xffffff                               // 000000007094: 8652FF52 00FFFFFF
	s_cmp_lt_u32 s82, s66                                      // 00000000709C: BF0A4252
	s_cselect_b32 s21, s36, s60                                // 0000000070A0: 85153C24
	s_mov_b64 exec, s[20:21]                                   // 0000000070A4: BEFE0114
	global_atomic_add_f32 v6, v111, s[8:9] offset:8            // 0000000070A8: DD348008 00086F06
	s_mov_b64 exec, s[36:37]                                   // 0000000070B0: BEFE0124
	v_mov_b32_e32 v6, v64                                      // 0000000070B4: 7E0C0340
	s_mov_b64 s[60:61], 0                                      // 0000000070B8: BEBC0180
	v_readlane_b32 s82, v3, 20                                 // 0000000070BC: D2890052 00012903
	s_and_b32 s82, s82, 0xffffff                               // 0000000070C4: 8652FF52 00FFFFFF
	s_cmp_lt_u32 s82, s66                                      // 0000000070CC: BF0A4252
	s_cselect_b32 s20, s36, s60                                // 0000000070D0: 85143C24
	v_readlane_b32 s82, v3, 21                                 // 0000000070D4: D2890052 00012B03
	s_and_b32 s82, s82, 0xffffff                               // 0000000070DC: 8652FF52 00FFFFFF
	s_cmp_lt_u32 s82, s66                                      // 0000000070E4: BF0A4252
	s_cselect_b32 s21, s36, s60                                // 0000000070E8: 85153C24
	s_mov_b64 exec, s[20:21]                                   // 0000000070EC: BEFE0114
	global_atomic_add_f32 v6, v114, s[8:9] offset:8            // 0000000070F0: DD348008 00087206
	s_mov_b64 exec, s[36:37]                                   // 0000000070F8: BEFE0124
	v_mov_b32_e32 v6, v65                                      // 0000000070FC: 7E0C0341
	s_mov_b64 s[60:61], 0                                      // 000000007100: BEBC0180
	v_readlane_b32 s82, v3, 22                                 // 000000007104: D2890052 00012D03
	s_and_b32 s82, s82, 0xffffff                               // 00000000710C: 8652FF52 00FFFFFF
	s_cmp_lt_u32 s82, s66                                      // 000000007114: BF0A4252
	s_cselect_b32 s20, s36, s60                                // 000000007118: 85143C24
	v_readlane_b32 s82, v3, 23                                 // 00000000711C: D2890052 00012F03
	s_and_b32 s82, s82, 0xffffff                               // 000000007124: 8652FF52 00FFFFFF
	s_cmp_lt_u32 s82, s66                                      // 00000000712C: BF0A4252
	s_cselect_b32 s21, s36, s60                                // 000000007130: 85153C24
	s_mov_b64 exec, s[20:21]                                   // 000000007134: BEFE0114
	global_atomic_add_f32 v6, v115, s[8:9] offset:8            // 000000007138: DD348008 00087306
	s_mov_b64 exec, s[36:37]                                   // 000000007140: BEFE0124
	s_branch label_20C3                                        // 000000007144: BF820EEE

0000000000007148 <label_11D5>:
	s_waitcnt vmcnt(14) lgkmcnt(0)                             // 000000007148: BF8C007E
	v_mfma_f32_16x16x32_fp8_fp8 v[68:71], a[96:97], a[0:1], v[68:71]// 00000000714C: D3F30044 1D120160
	buffer_load_dwordx4 a[112:115], v66, s[24:27], 0 offen     // 000000007154: E05C1000 80867042
	v_mfma_f32_16x16x32_fp8_fp8 v[68:71], a[98:99], a[2:3], v[68:71]// 00000000715C: D3F30044 1D120562
	v_mfma_f32_16x16x32_fp8_fp8 v[68:71], a[100:101], a[4:5], v[68:71]// 000000007164: D3F30044 1D120964
	v_mfma_f32_16x16x32_fp8_fp8 v[68:71], a[102:103], a[6:7], v[68:71]// 00000000716C: D3F30044 1D120D66
	v_mfma_f32_16x16x32_fp8_fp8 v[72:75], a[96:97], a[8:9], v[72:75]// 000000007174: D3F30048 1D221160
	buffer_load_dwordx4 a[116:119], v66, s[24:27], 0 offen offset:1024// 00000000717C: E05C1400 80867442
	buffer_load_dword v54, s[20:23], 0 offen lds               // 000000007184: E0511000 80050036
	s_add_u32 m0, 0x100, s50                                   // 00000000718C: 807C32FF 00000100
	v_mfma_f32_16x16x32_fp8_fp8 v[72:75], a[98:99], a[10:11], v[72:75]// 000000007194: D3F30048 1D221562
	v_mfma_f32_16x16x32_fp8_fp8 v[72:75], a[100:101], a[12:13], v[72:75]// 00000000719C: D3F30048 1D221964
	buffer_load_dword v55, s[20:23], 0 offen lds               // 0000000071A4: E0511000 80050037
	s_add_u32 m0, 0x200, s50                                   // 0000000071AC: 807C32FF 00000200
	v_mfma_f32_16x16x32_fp8_fp8 v[72:75], a[102:103], a[14:15], v[72:75]// 0000000071B4: D3F30048 1D221D66
	v_mfma_f32_16x16x32_fp8_fp8 v[76:79], a[96:97], a[16:17], v[76:79]// 0000000071BC: D3F3004C 1D322160
	buffer_load_dword v56, s[20:23], 0 offen lds               // 0000000071C4: E0511000 80050038
	s_add_u32 m0, 0x300, s50                                   // 0000000071CC: 807C32FF 00000300
	v_mfma_f32_16x16x32_fp8_fp8 v[76:79], a[98:99], a[18:19], v[76:79]// 0000000071D4: D3F3004C 1D322562
	v_mfma_f32_16x16x32_fp8_fp8 v[76:79], a[100:101], a[20:21], v[76:79]// 0000000071DC: D3F3004C 1D322964
	buffer_load_dword v57, s[20:23], 0 offen lds               // 0000000071E4: E0511000 80050039
	s_add_u32 m0, 0x400, s50                                   // 0000000071EC: 807C32FF 00000400
	v_mfma_f32_16x16x32_fp8_fp8 v[76:79], a[102:103], a[22:23], v[76:79]// 0000000071F4: D3F3004C 1D322D66
	v_mfma_f32_16x16x32_fp8_fp8 v[80:83], a[96:97], a[24:25], v[80:83]// 0000000071FC: D3F30050 1D423160
	buffer_load_dword v58, s[20:23], 0 offen lds               // 000000007204: E0511000 8005003A
	s_add_u32 m0, 0x500, s50                                   // 00000000720C: 807C32FF 00000500
	v_mfma_f32_16x16x32_fp8_fp8 v[80:83], a[98:99], a[26:27], v[80:83]// 000000007214: D3F30050 1D423562
	v_mfma_f32_16x16x32_fp8_fp8 v[80:83], a[100:101], a[28:29], v[80:83]// 00000000721C: D3F30050 1D423964
	buffer_load_dword v59, s[20:23], 0 offen lds               // 000000007224: E0511000 8005003B
	s_add_u32 m0, 0x600, s50                                   // 00000000722C: 807C32FF 00000600
	v_mfma_f32_16x16x32_fp8_fp8 v[80:83], a[102:103], a[30:31], v[80:83]// 000000007234: D3F30050 1D423D66
	v_mfma_f32_16x16x32_fp8_fp8 v[84:87], a[96:97], a[32:33], v[84:87]// 00000000723C: D3F30054 1D524160
	buffer_load_dword v60, s[20:23], 0 offen lds               // 000000007244: E0511000 8005003C
	s_add_u32 m0, 0x700, s50                                   // 00000000724C: 807C32FF 00000700
	v_mfma_f32_16x16x32_fp8_fp8 v[84:87], a[98:99], a[34:35], v[84:87]// 000000007254: D3F30054 1D524562
	v_mfma_f32_16x16x32_fp8_fp8 v[84:87], a[100:101], a[36:37], v[84:87]// 00000000725C: D3F30054 1D524964
	buffer_load_dword v61, s[20:23], 0 offen lds               // 000000007264: E0511000 8005003D
	s_add_u32 m0, 0x800, s50                                   // 00000000726C: 807C32FF 00000800
	v_mfma_f32_16x16x32_fp8_fp8 v[84:87], a[102:103], a[38:39], v[84:87]// 000000007274: D3F30054 1D524D66
	v_mfma_f32_16x16x32_fp8_fp8 v[88:91], a[96:97], a[40:41], v[88:91]// 00000000727C: D3F30058 1D625160
	buffer_load_dword v62, s[20:23], 0 offen lds               // 000000007284: E0511000 8005003E
	s_add_u32 m0, 0x900, s50                                   // 00000000728C: 807C32FF 00000900
	v_mfma_f32_16x16x32_fp8_fp8 v[88:91], a[98:99], a[42:43], v[88:91]// 000000007294: D3F30058 1D625562
	v_mfma_f32_16x16x32_fp8_fp8 v[88:91], a[100:101], a[44:45], v[88:91]// 00000000729C: D3F30058 1D625964
	buffer_load_dword v63, s[20:23], 0 offen lds               // 0000000072A4: E0511000 8005003F
	s_add_u32 m0, 0xa00, s50                                   // 0000000072AC: 807C32FF 00000A00
	v_mfma_f32_16x16x32_fp8_fp8 v[88:91], a[102:103], a[46:47], v[88:91]// 0000000072B4: D3F30058 1D625D66
	buffer_load_dword v64, s[20:23], 0 offen lds               // 0000000072BC: E0511000 80050040
	s_add_u32 m0, 0xb00, s50                                   // 0000000072C4: 807C32FF 00000B00
	buffer_load_dword v65, s[20:23], 0 offen lds               // 0000000072CC: E0511000 80050041
	s_add_u32 m0, 0, s48                                       // 0000000072D4: 807C3080
	s_waitcnt vmcnt(14)                                        // 0000000072D8: BF8C0F7E
	s_barrier                                                  // 0000000072DC: BF8A0000
	v_mfma_f32_16x16x32_fp8_fp8 v[92:95], a[104:105], a[0:1], v[92:95]// 0000000072E0: D3F3005C 1D720168
	buffer_load_dwordx4 a[96:99], v66, s[84:87], 0 offen       // 0000000072E8: E05C1000 80956042
	v_mfma_f32_16x16x32_fp8_fp8 v[92:95], a[106:107], a[2:3], v[92:95]// 0000000072F0: D3F3005C 1D72056A
	v_mfma_f32_16x16x32_fp8_fp8 v[92:95], a[108:109], a[4:5], v[92:95]// 0000000072F8: D3F3005C 1D72096C
	ds_read_b128 a[48:51], v2 offset:12416                     // 000000007300: DBFE3080 30000002
	ds_read_b128 a[52:55], v2 offset:12480                     // 000000007308: DBFE30C0 34000002
	v_mfma_f32_16x16x32_fp8_fp8 v[92:95], a[110:111], a[6:7], v[92:95]// 000000007310: D3F3005C 1D720D6E
	v_mfma_f32_16x16x32_fp8_fp8 v[96:99], a[104:105], a[8:9], v[96:99]// 000000007318: D3F30060 1D821168
	buffer_load_dwordx4 a[100:103], v66, s[84:87], 0 offen offset:1024// 000000007320: E05C1400 80956442
	v_mfma_f32_16x16x32_fp8_fp8 v[96:99], a[106:107], a[10:11], v[96:99]// 000000007328: D3F30060 1D82156A
	v_mfma_f32_16x16x32_fp8_fp8 v[96:99], a[108:109], a[12:13], v[96:99]// 000000007330: D3F30060 1D82196C
	ds_read_b128 a[56:59], v2 offset:12928                     // 000000007338: DBFE3280 38000002
	ds_read_b128 a[60:63], v2 offset:12992                     // 000000007340: DBFE32C0 3C000002
	v_mfma_f32_16x16x32_fp8_fp8 v[96:99], a[110:111], a[14:15], v[96:99]// 000000007348: D3F30060 1D821D6E
	v_mfma_f32_16x16x32_fp8_fp8 v[100:103], a[104:105], a[16:17], v[100:103]// 000000007350: D3F30064 1D922168
	v_mfma_f32_16x16x32_fp8_fp8 v[100:103], a[106:107], a[18:19], v[100:103]// 000000007358: D3F30064 1D92256A
	v_mfma_f32_16x16x32_fp8_fp8 v[100:103], a[108:109], a[20:21], v[100:103]// 000000007360: D3F30064 1D92296C
	ds_read_b128 a[64:67], v2 offset:13440                     // 000000007368: DBFE3480 40000002
	ds_read_b128 a[68:71], v2 offset:13504                     // 000000007370: DBFE34C0 44000002
	v_mfma_f32_16x16x32_fp8_fp8 v[100:103], a[110:111], a[22:23], v[100:103]// 000000007378: D3F30064 1D922D6E
	v_mfma_f32_16x16x32_fp8_fp8 v[104:107], a[104:105], a[24:25], v[104:107]// 000000007380: D3F30068 1DA23168
	v_mfma_f32_16x16x32_fp8_fp8 v[104:107], a[106:107], a[26:27], v[104:107]// 000000007388: D3F30068 1DA2356A
	v_mfma_f32_16x16x32_fp8_fp8 v[104:107], a[108:109], a[28:29], v[104:107]// 000000007390: D3F30068 1DA2396C
	ds_read_b128 a[72:75], v2 offset:13952                     // 000000007398: DBFE3680 48000002
	ds_read_b128 a[76:79], v2 offset:14016                     // 0000000073A0: DBFE36C0 4C000002
	v_mfma_f32_16x16x32_fp8_fp8 v[104:107], a[110:111], a[30:31], v[104:107]// 0000000073A8: D3F30068 1DA23D6E
	v_mfma_f32_16x16x32_fp8_fp8 v[108:111], a[104:105], a[32:33], v[108:111]// 0000000073B0: D3F3006C 1DB24168
	s_add_u32 s60, 0x180, s80                                  // 0000000073B8: 803C50FF 00000180
	s_cmp_lt_u32 s60, s81                                      // 0000000073C0: BF0A513C
	s_cselect_b32 s57, s57, 0                                  // 0000000073C4: 85398039
	v_mfma_f32_16x16x32_fp8_fp8 v[108:111], a[106:107], a[34:35], v[108:111]// 0000000073C8: D3F3006C 1DB2456A
	s_add_u32 s60, 0x100, s80                                  // 0000000073D0: 803C50FF 00000100
	s_cmp_lt_u32 s60, s81                                      // 0000000073D8: BF0A513C
	s_cselect_b32 s58, s58, 0                                  // 0000000073DC: 853A803A
	v_mfma_f32_16x16x32_fp8_fp8 v[108:111], a[108:109], a[36:37], v[108:111]// 0000000073E0: D3F3006C 1DB2496C
	ds_read_b128 a[80:83], v2 offset:14464                     // 0000000073E8: DBFE3880 50000002
	ds_read_b128 a[84:87], v2 offset:14528                     // 0000000073F0: DBFE38C0 54000002
	s_add_u32 s60, 0x100, s80                                  // 0000000073F8: 803C50FF 00000100
	s_cmp_lt_u32 s60, s81                                      // 000000007400: BF0A513C
	s_cselect_b32 s83, s83, 0                                  // 000000007404: 85538053
	v_mfma_f32_16x16x32_fp8_fp8 v[108:111], a[110:111], a[38:39], v[108:111]// 000000007408: D3F3006C 1DB24D6E
	s_add_u32 s24, s58, s24                                    // 000000007410: 8018183A
	s_addc_u32 s25, 0, s25                                     // 000000007414: 82191980
	v_mfma_f32_16x16x32_fp8_fp8 v[112:115], a[104:105], a[40:41], v[112:115]// 000000007418: D3F30070 1DC25168
	s_add_u32 s20, s57, s20                                    // 000000007420: 80141439
	s_addc_u32 s21, 0, s21                                     // 000000007424: 82151580
	v_mfma_f32_16x16x32_fp8_fp8 v[112:115], a[106:107], a[42:43], v[112:115]// 000000007428: D3F30070 1DC2556A
	s_add_u32 s84, s83, s84                                    // 000000007430: 80545453
	s_addc_u32 s85, 0, s85                                     // 000000007434: 82555580
	v_mfma_f32_16x16x32_fp8_fp8 v[112:115], a[108:109], a[44:45], v[112:115]// 000000007438: D3F30070 1DC2596C
	ds_read_b128 a[88:91], v2 offset:14976                     // 000000007440: DBFE3A80 58000002
	ds_read_b128 a[92:95], v2 offset:15040                     // 000000007448: DBFE3AC0 5C000002
	v_mfma_f32_16x16x32_fp8_fp8 v[112:115], a[110:111], a[46:47], v[112:115]// 000000007450: D3F30070 1DC25D6E
	s_addk_i32 s80, 0x80                                       // 000000007458: B7500080
	s_cmp_lt_i32 s80, s81                                      // 00000000745C: BF045150
	s_cbranch_scc0 label_1680                                  // 000000007460: BF8403E4
	s_waitcnt vmcnt(14) lgkmcnt(0)                             // 000000007464: BF8C007E
	v_mfma_f32_16x16x32_fp8_fp8 v[68:71], a[112:113], a[48:49], v[68:71]// 000000007468: D3F30044 1D126170
	buffer_load_dwordx4 a[104:107], v66, s[24:27], 0 offen     // 000000007470: E05C1000 80866842
	v_mfma_f32_16x16x32_fp8_fp8 v[68:71], a[114:115], a[50:51], v[68:71]// 000000007478: D3F30044 1D126572
	v_mfma_f32_16x16x32_fp8_fp8 v[68:71], a[116:117], a[52:53], v[68:71]// 000000007480: D3F30044 1D126974
	v_mfma_f32_16x16x32_fp8_fp8 v[68:71], a[118:119], a[54:55], v[68:71]// 000000007488: D3F30044 1D126D76
	v_mfma_f32_16x16x32_fp8_fp8 v[72:75], a[112:113], a[56:57], v[72:75]// 000000007490: D3F30048 1D227170
	buffer_load_dwordx4 a[108:111], v66, s[24:27], 0 offen offset:1024// 000000007498: E05C1400 80866C42
	buffer_load_dword v54, s[20:23], 0 offen lds               // 0000000074A0: E0511000 80050036
	s_add_u32 m0, 0x100, s48                                   // 0000000074A8: 807C30FF 00000100
	v_mfma_f32_16x16x32_fp8_fp8 v[72:75], a[114:115], a[58:59], v[72:75]// 0000000074B0: D3F30048 1D227572
	v_mfma_f32_16x16x32_fp8_fp8 v[72:75], a[116:117], a[60:61], v[72:75]// 0000000074B8: D3F30048 1D227974
	buffer_load_dword v55, s[20:23], 0 offen lds               // 0000000074C0: E0511000 80050037
	s_add_u32 m0, 0x200, s48                                   // 0000000074C8: 807C30FF 00000200
	v_mfma_f32_16x16x32_fp8_fp8 v[72:75], a[118:119], a[62:63], v[72:75]// 0000000074D0: D3F30048 1D227D76
	v_mfma_f32_16x16x32_fp8_fp8 v[76:79], a[112:113], a[64:65], v[76:79]// 0000000074D8: D3F3004C 1D328170
	buffer_load_dword v56, s[20:23], 0 offen lds               // 0000000074E0: E0511000 80050038
	s_add_u32 m0, 0x300, s48                                   // 0000000074E8: 807C30FF 00000300
	v_mfma_f32_16x16x32_fp8_fp8 v[76:79], a[114:115], a[66:67], v[76:79]// 0000000074F0: D3F3004C 1D328572
	v_mfma_f32_16x16x32_fp8_fp8 v[76:79], a[116:117], a[68:69], v[76:79]// 0000000074F8: D3F3004C 1D328974
	buffer_load_dword v57, s[20:23], 0 offen lds               // 000000007500: E0511000 80050039
	s_add_u32 m0, 0x400, s48                                   // 000000007508: 807C30FF 00000400
	v_mfma_f32_16x16x32_fp8_fp8 v[76:79], a[118:119], a[70:71], v[76:79]// 000000007510: D3F3004C 1D328D76
	v_mfma_f32_16x16x32_fp8_fp8 v[80:83], a[112:113], a[72:73], v[80:83]// 000000007518: D3F30050 1D429170
	buffer_load_dword v58, s[20:23], 0 offen lds               // 000000007520: E0511000 8005003A
	s_add_u32 m0, 0x500, s48                                   // 000000007528: 807C30FF 00000500
	v_mfma_f32_16x16x32_fp8_fp8 v[80:83], a[114:115], a[74:75], v[80:83]// 000000007530: D3F30050 1D429572
	v_mfma_f32_16x16x32_fp8_fp8 v[80:83], a[116:117], a[76:77], v[80:83]// 000000007538: D3F30050 1D429974
	buffer_load_dword v59, s[20:23], 0 offen lds               // 000000007540: E0511000 8005003B
	s_add_u32 m0, 0x600, s48                                   // 000000007548: 807C30FF 00000600
	v_mfma_f32_16x16x32_fp8_fp8 v[80:83], a[118:119], a[78:79], v[80:83]// 000000007550: D3F30050 1D429D76
	v_mfma_f32_16x16x32_fp8_fp8 v[84:87], a[112:113], a[80:81], v[84:87]// 000000007558: D3F30054 1D52A170
	buffer_load_dword v60, s[20:23], 0 offen lds               // 000000007560: E0511000 8005003C
	s_add_u32 m0, 0x700, s48                                   // 000000007568: 807C30FF 00000700
	v_mfma_f32_16x16x32_fp8_fp8 v[84:87], a[114:115], a[82:83], v[84:87]// 000000007570: D3F30054 1D52A572
	v_mfma_f32_16x16x32_fp8_fp8 v[84:87], a[116:117], a[84:85], v[84:87]// 000000007578: D3F30054 1D52A974
	buffer_load_dword v61, s[20:23], 0 offen lds               // 000000007580: E0511000 8005003D
	s_add_u32 m0, 0x800, s48                                   // 000000007588: 807C30FF 00000800
	v_mfma_f32_16x16x32_fp8_fp8 v[84:87], a[118:119], a[86:87], v[84:87]// 000000007590: D3F30054 1D52AD76
	v_mfma_f32_16x16x32_fp8_fp8 v[88:91], a[112:113], a[88:89], v[88:91]// 000000007598: D3F30058 1D62B170
	buffer_load_dword v62, s[20:23], 0 offen lds               // 0000000075A0: E0511000 8005003E
	s_add_u32 m0, 0x900, s48                                   // 0000000075A8: 807C30FF 00000900
	v_mfma_f32_16x16x32_fp8_fp8 v[88:91], a[114:115], a[90:91], v[88:91]// 0000000075B0: D3F30058 1D62B572
	v_mfma_f32_16x16x32_fp8_fp8 v[88:91], a[116:117], a[92:93], v[88:91]// 0000000075B8: D3F30058 1D62B974
	buffer_load_dword v63, s[20:23], 0 offen lds               // 0000000075C0: E0511000 8005003F
	s_add_u32 m0, 0xa00, s48                                   // 0000000075C8: 807C30FF 00000A00
	v_mfma_f32_16x16x32_fp8_fp8 v[88:91], a[118:119], a[94:95], v[88:91]// 0000000075D0: D3F30058 1D62BD76
	buffer_load_dword v64, s[20:23], 0 offen lds               // 0000000075D8: E0511000 80050040
	s_add_u32 m0, 0xb00, s48                                   // 0000000075E0: 807C30FF 00000B00
	buffer_load_dword v65, s[20:23], 0 offen lds               // 0000000075E8: E0511000 80050041
	s_add_u32 m0, 0, s49                                       // 0000000075F0: 807C3180
	s_waitcnt vmcnt(14)                                        // 0000000075F4: BF8C0F7E
	s_barrier                                                  // 0000000075F8: BF8A0000
	v_mfma_f32_16x16x32_fp8_fp8 v[92:95], a[96:97], a[48:49], v[92:95]// 0000000075FC: D3F3005C 1D726160
	buffer_load_dwordx4 a[112:115], v66, s[84:87], 0 offen     // 000000007604: E05C1000 80957042
	v_mfma_f32_16x16x32_fp8_fp8 v[92:95], a[98:99], a[50:51], v[92:95]// 00000000760C: D3F3005C 1D726562
	v_mfma_f32_16x16x32_fp8_fp8 v[92:95], a[100:101], a[52:53], v[92:95]// 000000007614: D3F3005C 1D726964
	ds_read_b128 a[0:3], v2 offset:24832                       // 00000000761C: DBFE6100 00000002
	ds_read_b128 a[4:7], v2 offset:24896                       // 000000007624: DBFE6140 04000002
	v_mfma_f32_16x16x32_fp8_fp8 v[92:95], a[102:103], a[54:55], v[92:95]// 00000000762C: D3F3005C 1D726D66
	v_mfma_f32_16x16x32_fp8_fp8 v[96:99], a[96:97], a[56:57], v[96:99]// 000000007634: D3F30060 1D827160
	buffer_load_dwordx4 a[116:119], v66, s[84:87], 0 offen offset:1024// 00000000763C: E05C1400 80957442
	v_mfma_f32_16x16x32_fp8_fp8 v[96:99], a[98:99], a[58:59], v[96:99]// 000000007644: D3F30060 1D827562
	v_mfma_f32_16x16x32_fp8_fp8 v[96:99], a[100:101], a[60:61], v[96:99]// 00000000764C: D3F30060 1D827964
	ds_read_b128 a[8:11], v2 offset:25344                      // 000000007654: DBFE6300 08000002
	ds_read_b128 a[12:15], v2 offset:25408                     // 00000000765C: DBFE6340 0C000002
	v_mfma_f32_16x16x32_fp8_fp8 v[96:99], a[102:103], a[62:63], v[96:99]// 000000007664: D3F30060 1D827D66
	v_mfma_f32_16x16x32_fp8_fp8 v[100:103], a[96:97], a[64:65], v[100:103]// 00000000766C: D3F30064 1D928160
	v_mfma_f32_16x16x32_fp8_fp8 v[100:103], a[98:99], a[66:67], v[100:103]// 000000007674: D3F30064 1D928562
	v_mfma_f32_16x16x32_fp8_fp8 v[100:103], a[100:101], a[68:69], v[100:103]// 00000000767C: D3F30064 1D928964
	ds_read_b128 a[16:19], v2 offset:25856                     // 000000007684: DBFE6500 10000002
	ds_read_b128 a[20:23], v2 offset:25920                     // 00000000768C: DBFE6540 14000002
	v_mfma_f32_16x16x32_fp8_fp8 v[100:103], a[102:103], a[70:71], v[100:103]// 000000007694: D3F30064 1D928D66
	v_mfma_f32_16x16x32_fp8_fp8 v[104:107], a[96:97], a[72:73], v[104:107]// 00000000769C: D3F30068 1DA29160
	v_mfma_f32_16x16x32_fp8_fp8 v[104:107], a[98:99], a[74:75], v[104:107]// 0000000076A4: D3F30068 1DA29562
	v_mfma_f32_16x16x32_fp8_fp8 v[104:107], a[100:101], a[76:77], v[104:107]// 0000000076AC: D3F30068 1DA29964
	ds_read_b128 a[24:27], v2 offset:26368                     // 0000000076B4: DBFE6700 18000002
	ds_read_b128 a[28:31], v2 offset:26432                     // 0000000076BC: DBFE6740 1C000002
	v_mfma_f32_16x16x32_fp8_fp8 v[104:107], a[102:103], a[78:79], v[104:107]// 0000000076C4: D3F30068 1DA29D66
	v_mfma_f32_16x16x32_fp8_fp8 v[108:111], a[96:97], a[80:81], v[108:111]// 0000000076CC: D3F3006C 1DB2A160
	s_add_u32 s60, 0x180, s80                                  // 0000000076D4: 803C50FF 00000180
	s_cmp_lt_u32 s60, s81                                      // 0000000076DC: BF0A513C
	s_cselect_b32 s57, s57, 0                                  // 0000000076E0: 85398039
	v_mfma_f32_16x16x32_fp8_fp8 v[108:111], a[98:99], a[82:83], v[108:111]// 0000000076E4: D3F3006C 1DB2A562
	s_add_u32 s60, 0x100, s80                                  // 0000000076EC: 803C50FF 00000100
	s_cmp_lt_u32 s60, s81                                      // 0000000076F4: BF0A513C
	s_cselect_b32 s58, s58, 0                                  // 0000000076F8: 853A803A
	v_mfma_f32_16x16x32_fp8_fp8 v[108:111], a[100:101], a[84:85], v[108:111]// 0000000076FC: D3F3006C 1DB2A964
	ds_read_b128 a[32:35], v2 offset:26880                     // 000000007704: DBFE6900 20000002
	ds_read_b128 a[36:39], v2 offset:26944                     // 00000000770C: DBFE6940 24000002
	s_add_u32 s60, 0x100, s80                                  // 000000007714: 803C50FF 00000100
	s_cmp_lt_u32 s60, s81                                      // 00000000771C: BF0A513C
	s_cselect_b32 s83, s83, 0                                  // 000000007720: 85538053
	v_mfma_f32_16x16x32_fp8_fp8 v[108:111], a[102:103], a[86:87], v[108:111]// 000000007724: D3F3006C 1DB2AD66
	s_add_u32 s24, s58, s24                                    // 00000000772C: 8018183A
	s_addc_u32 s25, 0, s25                                     // 000000007730: 82191980
	v_mfma_f32_16x16x32_fp8_fp8 v[112:115], a[96:97], a[88:89], v[112:115]// 000000007734: D3F30070 1DC2B160
	s_add_u32 s20, s57, s20                                    // 00000000773C: 80141439
	s_addc_u32 s21, 0, s21                                     // 000000007740: 82151580
	v_mfma_f32_16x16x32_fp8_fp8 v[112:115], a[98:99], a[90:91], v[112:115]// 000000007744: D3F30070 1DC2B562
	s_add_u32 s84, s83, s84                                    // 00000000774C: 80545453
	s_addc_u32 s85, 0, s85                                     // 000000007750: 82555580
	v_mfma_f32_16x16x32_fp8_fp8 v[112:115], a[100:101], a[92:93], v[112:115]// 000000007754: D3F30070 1DC2B964
	ds_read_b128 a[40:43], v2 offset:27392                     // 00000000775C: DBFE6B00 28000002
	ds_read_b128 a[44:47], v2 offset:27456                     // 000000007764: DBFE6B40 2C000002
	v_mfma_f32_16x16x32_fp8_fp8 v[112:115], a[102:103], a[94:95], v[112:115]// 00000000776C: D3F30070 1DC2BD66
	s_addk_i32 s80, 0x80                                       // 000000007774: B7500080
	s_cmp_lt_i32 s80, s81                                      // 000000007778: BF045150
	s_cbranch_scc0 label_1680                                  // 00000000777C: BF84031D
	s_waitcnt vmcnt(14) lgkmcnt(0)                             // 000000007780: BF8C007E
	v_mfma_f32_16x16x32_fp8_fp8 v[68:71], a[104:105], a[0:1], v[68:71]// 000000007784: D3F30044 1D120168
	buffer_load_dwordx4 a[96:99], v66, s[24:27], 0 offen       // 00000000778C: E05C1000 80866042
	v_mfma_f32_16x16x32_fp8_fp8 v[68:71], a[106:107], a[2:3], v[68:71]// 000000007794: D3F30044 1D12056A
	v_mfma_f32_16x16x32_fp8_fp8 v[68:71], a[108:109], a[4:5], v[68:71]// 00000000779C: D3F30044 1D12096C
	v_mfma_f32_16x16x32_fp8_fp8 v[68:71], a[110:111], a[6:7], v[68:71]// 0000000077A4: D3F30044 1D120D6E
	v_mfma_f32_16x16x32_fp8_fp8 v[72:75], a[104:105], a[8:9], v[72:75]// 0000000077AC: D3F30048 1D221168
	buffer_load_dwordx4 a[100:103], v66, s[24:27], 0 offen offset:1024// 0000000077B4: E05C1400 80866442
	buffer_load_dword v54, s[20:23], 0 offen lds               // 0000000077BC: E0511000 80050036
	s_add_u32 m0, 0x100, s49                                   // 0000000077C4: 807C31FF 00000100
	v_mfma_f32_16x16x32_fp8_fp8 v[72:75], a[106:107], a[10:11], v[72:75]// 0000000077CC: D3F30048 1D22156A
	v_mfma_f32_16x16x32_fp8_fp8 v[72:75], a[108:109], a[12:13], v[72:75]// 0000000077D4: D3F30048 1D22196C
	buffer_load_dword v55, s[20:23], 0 offen lds               // 0000000077DC: E0511000 80050037
	s_add_u32 m0, 0x200, s49                                   // 0000000077E4: 807C31FF 00000200
	v_mfma_f32_16x16x32_fp8_fp8 v[72:75], a[110:111], a[14:15], v[72:75]// 0000000077EC: D3F30048 1D221D6E
	v_mfma_f32_16x16x32_fp8_fp8 v[76:79], a[104:105], a[16:17], v[76:79]// 0000000077F4: D3F3004C 1D322168
	buffer_load_dword v56, s[20:23], 0 offen lds               // 0000000077FC: E0511000 80050038
	s_add_u32 m0, 0x300, s49                                   // 000000007804: 807C31FF 00000300
	v_mfma_f32_16x16x32_fp8_fp8 v[76:79], a[106:107], a[18:19], v[76:79]// 00000000780C: D3F3004C 1D32256A
	v_mfma_f32_16x16x32_fp8_fp8 v[76:79], a[108:109], a[20:21], v[76:79]// 000000007814: D3F3004C 1D32296C
	buffer_load_dword v57, s[20:23], 0 offen lds               // 00000000781C: E0511000 80050039
	s_add_u32 m0, 0x400, s49                                   // 000000007824: 807C31FF 00000400
	v_mfma_f32_16x16x32_fp8_fp8 v[76:79], a[110:111], a[22:23], v[76:79]// 00000000782C: D3F3004C 1D322D6E
	v_mfma_f32_16x16x32_fp8_fp8 v[80:83], a[104:105], a[24:25], v[80:83]// 000000007834: D3F30050 1D423168
	buffer_load_dword v58, s[20:23], 0 offen lds               // 00000000783C: E0511000 8005003A
	s_add_u32 m0, 0x500, s49                                   // 000000007844: 807C31FF 00000500
	v_mfma_f32_16x16x32_fp8_fp8 v[80:83], a[106:107], a[26:27], v[80:83]// 00000000784C: D3F30050 1D42356A
	v_mfma_f32_16x16x32_fp8_fp8 v[80:83], a[108:109], a[28:29], v[80:83]// 000000007854: D3F30050 1D42396C
	buffer_load_dword v59, s[20:23], 0 offen lds               // 00000000785C: E0511000 8005003B
	s_add_u32 m0, 0x600, s49                                   // 000000007864: 807C31FF 00000600
	v_mfma_f32_16x16x32_fp8_fp8 v[80:83], a[110:111], a[30:31], v[80:83]// 00000000786C: D3F30050 1D423D6E
	v_mfma_f32_16x16x32_fp8_fp8 v[84:87], a[104:105], a[32:33], v[84:87]// 000000007874: D3F30054 1D524168
	buffer_load_dword v60, s[20:23], 0 offen lds               // 00000000787C: E0511000 8005003C
	s_add_u32 m0, 0x700, s49                                   // 000000007884: 807C31FF 00000700
	v_mfma_f32_16x16x32_fp8_fp8 v[84:87], a[106:107], a[34:35], v[84:87]// 00000000788C: D3F30054 1D52456A
	v_mfma_f32_16x16x32_fp8_fp8 v[84:87], a[108:109], a[36:37], v[84:87]// 000000007894: D3F30054 1D52496C
	buffer_load_dword v61, s[20:23], 0 offen lds               // 00000000789C: E0511000 8005003D
	s_add_u32 m0, 0x800, s49                                   // 0000000078A4: 807C31FF 00000800
	v_mfma_f32_16x16x32_fp8_fp8 v[84:87], a[110:111], a[38:39], v[84:87]// 0000000078AC: D3F30054 1D524D6E
	v_mfma_f32_16x16x32_fp8_fp8 v[88:91], a[104:105], a[40:41], v[88:91]// 0000000078B4: D3F30058 1D625168
	buffer_load_dword v62, s[20:23], 0 offen lds               // 0000000078BC: E0511000 8005003E
	s_add_u32 m0, 0x900, s49                                   // 0000000078C4: 807C31FF 00000900
	v_mfma_f32_16x16x32_fp8_fp8 v[88:91], a[106:107], a[42:43], v[88:91]// 0000000078CC: D3F30058 1D62556A
	v_mfma_f32_16x16x32_fp8_fp8 v[88:91], a[108:109], a[44:45], v[88:91]// 0000000078D4: D3F30058 1D62596C
	buffer_load_dword v63, s[20:23], 0 offen lds               // 0000000078DC: E0511000 8005003F
	s_add_u32 m0, 0xa00, s49                                   // 0000000078E4: 807C31FF 00000A00
	v_mfma_f32_16x16x32_fp8_fp8 v[88:91], a[110:111], a[46:47], v[88:91]// 0000000078EC: D3F30058 1D625D6E
	buffer_load_dword v64, s[20:23], 0 offen lds               // 0000000078F4: E0511000 80050040
	s_add_u32 m0, 0xb00, s49                                   // 0000000078FC: 807C31FF 00000B00
	buffer_load_dword v65, s[20:23], 0 offen lds               // 000000007904: E0511000 80050041
	s_add_u32 m0, 0, s50                                       // 00000000790C: 807C3280
	s_waitcnt vmcnt(14)                                        // 000000007910: BF8C0F7E
	s_barrier                                                  // 000000007914: BF8A0000
	v_mfma_f32_16x16x32_fp8_fp8 v[92:95], a[112:113], a[0:1], v[92:95]// 000000007918: D3F3005C 1D720170
	buffer_load_dwordx4 a[104:107], v66, s[84:87], 0 offen     // 000000007920: E05C1000 80956842
	v_mfma_f32_16x16x32_fp8_fp8 v[92:95], a[114:115], a[2:3], v[92:95]// 000000007928: D3F3005C 1D720572
	v_mfma_f32_16x16x32_fp8_fp8 v[92:95], a[116:117], a[4:5], v[92:95]// 000000007930: D3F3005C 1D720974
	ds_read_b128 a[48:51], v2                                  // 000000007938: DBFE0000 30000002
	ds_read_b128 a[52:55], v2 offset:64                        // 000000007940: DBFE0040 34000002
	v_mfma_f32_16x16x32_fp8_fp8 v[92:95], a[118:119], a[6:7], v[92:95]// 000000007948: D3F3005C 1D720D76
	v_mfma_f32_16x16x32_fp8_fp8 v[96:99], a[112:113], a[8:9], v[96:99]// 000000007950: D3F30060 1D821170
	buffer_load_dwordx4 a[108:111], v66, s[84:87], 0 offen offset:1024// 000000007958: E05C1400 80956C42
	v_mfma_f32_16x16x32_fp8_fp8 v[96:99], a[114:115], a[10:11], v[96:99]// 000000007960: D3F30060 1D821572
	v_mfma_f32_16x16x32_fp8_fp8 v[96:99], a[116:117], a[12:13], v[96:99]// 000000007968: D3F30060 1D821974
	ds_read_b128 a[56:59], v2 offset:512                       // 000000007970: DBFE0200 38000002
	ds_read_b128 a[60:63], v2 offset:576                       // 000000007978: DBFE0240 3C000002
	v_mfma_f32_16x16x32_fp8_fp8 v[96:99], a[118:119], a[14:15], v[96:99]// 000000007980: D3F30060 1D821D76
	v_mfma_f32_16x16x32_fp8_fp8 v[100:103], a[112:113], a[16:17], v[100:103]// 000000007988: D3F30064 1D922170
	v_mfma_f32_16x16x32_fp8_fp8 v[100:103], a[114:115], a[18:19], v[100:103]// 000000007990: D3F30064 1D922572
	v_mfma_f32_16x16x32_fp8_fp8 v[100:103], a[116:117], a[20:21], v[100:103]// 000000007998: D3F30064 1D922974
	ds_read_b128 a[64:67], v2 offset:1024                      // 0000000079A0: DBFE0400 40000002
	ds_read_b128 a[68:71], v2 offset:1088                      // 0000000079A8: DBFE0440 44000002
	v_mfma_f32_16x16x32_fp8_fp8 v[100:103], a[118:119], a[22:23], v[100:103]// 0000000079B0: D3F30064 1D922D76
	v_mfma_f32_16x16x32_fp8_fp8 v[104:107], a[112:113], a[24:25], v[104:107]// 0000000079B8: D3F30068 1DA23170
	v_mfma_f32_16x16x32_fp8_fp8 v[104:107], a[114:115], a[26:27], v[104:107]// 0000000079C0: D3F30068 1DA23572
	v_mfma_f32_16x16x32_fp8_fp8 v[104:107], a[116:117], a[28:29], v[104:107]// 0000000079C8: D3F30068 1DA23974
	ds_read_b128 a[72:75], v2 offset:1536                      // 0000000079D0: DBFE0600 48000002
	ds_read_b128 a[76:79], v2 offset:1600                      // 0000000079D8: DBFE0640 4C000002
	v_mfma_f32_16x16x32_fp8_fp8 v[104:107], a[118:119], a[30:31], v[104:107]// 0000000079E0: D3F30068 1DA23D76
	v_mfma_f32_16x16x32_fp8_fp8 v[108:111], a[112:113], a[32:33], v[108:111]// 0000000079E8: D3F3006C 1DB24170
	s_add_u32 s60, 0x180, s80                                  // 0000000079F0: 803C50FF 00000180
	s_cmp_lt_u32 s60, s81                                      // 0000000079F8: BF0A513C
	s_cselect_b32 s57, s57, 0                                  // 0000000079FC: 85398039
	v_mfma_f32_16x16x32_fp8_fp8 v[108:111], a[114:115], a[34:35], v[108:111]// 000000007A00: D3F3006C 1DB24572
	s_add_u32 s60, 0x100, s80                                  // 000000007A08: 803C50FF 00000100
	s_cmp_lt_u32 s60, s81                                      // 000000007A10: BF0A513C
	s_cselect_b32 s58, s58, 0                                  // 000000007A14: 853A803A
	v_mfma_f32_16x16x32_fp8_fp8 v[108:111], a[116:117], a[36:37], v[108:111]// 000000007A18: D3F3006C 1DB24974
	ds_read_b128 a[80:83], v2 offset:2048                      // 000000007A20: DBFE0800 50000002
	ds_read_b128 a[84:87], v2 offset:2112                      // 000000007A28: DBFE0840 54000002
	s_add_u32 s60, 0x100, s80                                  // 000000007A30: 803C50FF 00000100
	s_cmp_lt_u32 s60, s81                                      // 000000007A38: BF0A513C
	s_cselect_b32 s83, s83, 0                                  // 000000007A3C: 85538053
	v_mfma_f32_16x16x32_fp8_fp8 v[108:111], a[118:119], a[38:39], v[108:111]// 000000007A40: D3F3006C 1DB24D76
	s_add_u32 s24, s58, s24                                    // 000000007A48: 8018183A
	s_addc_u32 s25, 0, s25                                     // 000000007A4C: 82191980
	v_mfma_f32_16x16x32_fp8_fp8 v[112:115], a[112:113], a[40:41], v[112:115]// 000000007A50: D3F30070 1DC25170
	s_add_u32 s20, s57, s20                                    // 000000007A58: 80141439
	s_addc_u32 s21, 0, s21                                     // 000000007A5C: 82151580
	v_mfma_f32_16x16x32_fp8_fp8 v[112:115], a[114:115], a[42:43], v[112:115]// 000000007A60: D3F30070 1DC25572
	s_add_u32 s84, s83, s84                                    // 000000007A68: 80545453
	s_addc_u32 s85, 0, s85                                     // 000000007A6C: 82555580
	v_mfma_f32_16x16x32_fp8_fp8 v[112:115], a[116:117], a[44:45], v[112:115]// 000000007A70: D3F30070 1DC25974
	ds_read_b128 a[88:91], v2 offset:2560                      // 000000007A78: DBFE0A00 58000002
	ds_read_b128 a[92:95], v2 offset:2624                      // 000000007A80: DBFE0A40 5C000002
	v_mfma_f32_16x16x32_fp8_fp8 v[112:115], a[118:119], a[46:47], v[112:115]// 000000007A88: D3F30070 1DC25D76
	s_addk_i32 s80, 0x80                                       // 000000007A90: B7500080
	s_cmp_lt_i32 s80, s81                                      // 000000007A94: BF045150
	s_cbranch_scc0 label_1680                                  // 000000007A98: BF840256
	s_waitcnt vmcnt(14) lgkmcnt(0)                             // 000000007A9C: BF8C007E
	v_mfma_f32_16x16x32_fp8_fp8 v[68:71], a[96:97], a[48:49], v[68:71]// 000000007AA0: D3F30044 1D126160
	buffer_load_dwordx4 a[112:115], v66, s[24:27], 0 offen     // 000000007AA8: E05C1000 80867042
	v_mfma_f32_16x16x32_fp8_fp8 v[68:71], a[98:99], a[50:51], v[68:71]// 000000007AB0: D3F30044 1D126562
	v_mfma_f32_16x16x32_fp8_fp8 v[68:71], a[100:101], a[52:53], v[68:71]// 000000007AB8: D3F30044 1D126964
	v_mfma_f32_16x16x32_fp8_fp8 v[68:71], a[102:103], a[54:55], v[68:71]// 000000007AC0: D3F30044 1D126D66
	v_mfma_f32_16x16x32_fp8_fp8 v[72:75], a[96:97], a[56:57], v[72:75]// 000000007AC8: D3F30048 1D227160
	buffer_load_dwordx4 a[116:119], v66, s[24:27], 0 offen offset:1024// 000000007AD0: E05C1400 80867442
	buffer_load_dword v54, s[20:23], 0 offen lds               // 000000007AD8: E0511000 80050036
	s_add_u32 m0, 0x100, s50                                   // 000000007AE0: 807C32FF 00000100
	v_mfma_f32_16x16x32_fp8_fp8 v[72:75], a[98:99], a[58:59], v[72:75]// 000000007AE8: D3F30048 1D227562
	v_mfma_f32_16x16x32_fp8_fp8 v[72:75], a[100:101], a[60:61], v[72:75]// 000000007AF0: D3F30048 1D227964
	buffer_load_dword v55, s[20:23], 0 offen lds               // 000000007AF8: E0511000 80050037
	s_add_u32 m0, 0x200, s50                                   // 000000007B00: 807C32FF 00000200
	v_mfma_f32_16x16x32_fp8_fp8 v[72:75], a[102:103], a[62:63], v[72:75]// 000000007B08: D3F30048 1D227D66
	v_mfma_f32_16x16x32_fp8_fp8 v[76:79], a[96:97], a[64:65], v[76:79]// 000000007B10: D3F3004C 1D328160
	buffer_load_dword v56, s[20:23], 0 offen lds               // 000000007B18: E0511000 80050038
	s_add_u32 m0, 0x300, s50                                   // 000000007B20: 807C32FF 00000300
	v_mfma_f32_16x16x32_fp8_fp8 v[76:79], a[98:99], a[66:67], v[76:79]// 000000007B28: D3F3004C 1D328562
	v_mfma_f32_16x16x32_fp8_fp8 v[76:79], a[100:101], a[68:69], v[76:79]// 000000007B30: D3F3004C 1D328964
	buffer_load_dword v57, s[20:23], 0 offen lds               // 000000007B38: E0511000 80050039
	s_add_u32 m0, 0x400, s50                                   // 000000007B40: 807C32FF 00000400
	v_mfma_f32_16x16x32_fp8_fp8 v[76:79], a[102:103], a[70:71], v[76:79]// 000000007B48: D3F3004C 1D328D66
	v_mfma_f32_16x16x32_fp8_fp8 v[80:83], a[96:97], a[72:73], v[80:83]// 000000007B50: D3F30050 1D429160
	buffer_load_dword v58, s[20:23], 0 offen lds               // 000000007B58: E0511000 8005003A
	s_add_u32 m0, 0x500, s50                                   // 000000007B60: 807C32FF 00000500
	v_mfma_f32_16x16x32_fp8_fp8 v[80:83], a[98:99], a[74:75], v[80:83]// 000000007B68: D3F30050 1D429562
	v_mfma_f32_16x16x32_fp8_fp8 v[80:83], a[100:101], a[76:77], v[80:83]// 000000007B70: D3F30050 1D429964
	buffer_load_dword v59, s[20:23], 0 offen lds               // 000000007B78: E0511000 8005003B
	s_add_u32 m0, 0x600, s50                                   // 000000007B80: 807C32FF 00000600
	v_mfma_f32_16x16x32_fp8_fp8 v[80:83], a[102:103], a[78:79], v[80:83]// 000000007B88: D3F30050 1D429D66
	v_mfma_f32_16x16x32_fp8_fp8 v[84:87], a[96:97], a[80:81], v[84:87]// 000000007B90: D3F30054 1D52A160
	buffer_load_dword v60, s[20:23], 0 offen lds               // 000000007B98: E0511000 8005003C
	s_add_u32 m0, 0x700, s50                                   // 000000007BA0: 807C32FF 00000700
	v_mfma_f32_16x16x32_fp8_fp8 v[84:87], a[98:99], a[82:83], v[84:87]// 000000007BA8: D3F30054 1D52A562
	v_mfma_f32_16x16x32_fp8_fp8 v[84:87], a[100:101], a[84:85], v[84:87]// 000000007BB0: D3F30054 1D52A964
	buffer_load_dword v61, s[20:23], 0 offen lds               // 000000007BB8: E0511000 8005003D
	s_add_u32 m0, 0x800, s50                                   // 000000007BC0: 807C32FF 00000800
	v_mfma_f32_16x16x32_fp8_fp8 v[84:87], a[102:103], a[86:87], v[84:87]// 000000007BC8: D3F30054 1D52AD66
	v_mfma_f32_16x16x32_fp8_fp8 v[88:91], a[96:97], a[88:89], v[88:91]// 000000007BD0: D3F30058 1D62B160
	buffer_load_dword v62, s[20:23], 0 offen lds               // 000000007BD8: E0511000 8005003E
	s_add_u32 m0, 0x900, s50                                   // 000000007BE0: 807C32FF 00000900
	v_mfma_f32_16x16x32_fp8_fp8 v[88:91], a[98:99], a[90:91], v[88:91]// 000000007BE8: D3F30058 1D62B562
	v_mfma_f32_16x16x32_fp8_fp8 v[88:91], a[100:101], a[92:93], v[88:91]// 000000007BF0: D3F30058 1D62B964
	buffer_load_dword v63, s[20:23], 0 offen lds               // 000000007BF8: E0511000 8005003F
	s_add_u32 m0, 0xa00, s50                                   // 000000007C00: 807C32FF 00000A00
	v_mfma_f32_16x16x32_fp8_fp8 v[88:91], a[102:103], a[94:95], v[88:91]// 000000007C08: D3F30058 1D62BD66
	buffer_load_dword v64, s[20:23], 0 offen lds               // 000000007C10: E0511000 80050040
	s_add_u32 m0, 0xb00, s50                                   // 000000007C18: 807C32FF 00000B00
	buffer_load_dword v65, s[20:23], 0 offen lds               // 000000007C20: E0511000 80050041
	s_add_u32 m0, 0, s48                                       // 000000007C28: 807C3080
	s_waitcnt vmcnt(14)                                        // 000000007C2C: BF8C0F7E
	s_barrier                                                  // 000000007C30: BF8A0000
	v_mfma_f32_16x16x32_fp8_fp8 v[92:95], a[104:105], a[48:49], v[92:95]// 000000007C34: D3F3005C 1D726168
	buffer_load_dwordx4 a[96:99], v66, s[84:87], 0 offen       // 000000007C3C: E05C1000 80956042
	v_mfma_f32_16x16x32_fp8_fp8 v[92:95], a[106:107], a[50:51], v[92:95]// 000000007C44: D3F3005C 1D72656A
	v_mfma_f32_16x16x32_fp8_fp8 v[92:95], a[108:109], a[52:53], v[92:95]// 000000007C4C: D3F3005C 1D72696C
	ds_read_b128 a[0:3], v2 offset:12416                       // 000000007C54: DBFE3080 00000002
	ds_read_b128 a[4:7], v2 offset:12480                       // 000000007C5C: DBFE30C0 04000002
	v_mfma_f32_16x16x32_fp8_fp8 v[92:95], a[110:111], a[54:55], v[92:95]// 000000007C64: D3F3005C 1D726D6E
	v_mfma_f32_16x16x32_fp8_fp8 v[96:99], a[104:105], a[56:57], v[96:99]// 000000007C6C: D3F30060 1D827168
	buffer_load_dwordx4 a[100:103], v66, s[84:87], 0 offen offset:1024// 000000007C74: E05C1400 80956442
	v_mfma_f32_16x16x32_fp8_fp8 v[96:99], a[106:107], a[58:59], v[96:99]// 000000007C7C: D3F30060 1D82756A
	v_mfma_f32_16x16x32_fp8_fp8 v[96:99], a[108:109], a[60:61], v[96:99]// 000000007C84: D3F30060 1D82796C
	ds_read_b128 a[8:11], v2 offset:12928                      // 000000007C8C: DBFE3280 08000002
	ds_read_b128 a[12:15], v2 offset:12992                     // 000000007C94: DBFE32C0 0C000002
	v_mfma_f32_16x16x32_fp8_fp8 v[96:99], a[110:111], a[62:63], v[96:99]// 000000007C9C: D3F30060 1D827D6E
	v_mfma_f32_16x16x32_fp8_fp8 v[100:103], a[104:105], a[64:65], v[100:103]// 000000007CA4: D3F30064 1D928168
	v_mfma_f32_16x16x32_fp8_fp8 v[100:103], a[106:107], a[66:67], v[100:103]// 000000007CAC: D3F30064 1D92856A
	v_mfma_f32_16x16x32_fp8_fp8 v[100:103], a[108:109], a[68:69], v[100:103]// 000000007CB4: D3F30064 1D92896C
	ds_read_b128 a[16:19], v2 offset:13440                     // 000000007CBC: DBFE3480 10000002
	ds_read_b128 a[20:23], v2 offset:13504                     // 000000007CC4: DBFE34C0 14000002
	v_mfma_f32_16x16x32_fp8_fp8 v[100:103], a[110:111], a[70:71], v[100:103]// 000000007CCC: D3F30064 1D928D6E
	v_mfma_f32_16x16x32_fp8_fp8 v[104:107], a[104:105], a[72:73], v[104:107]// 000000007CD4: D3F30068 1DA29168
	v_mfma_f32_16x16x32_fp8_fp8 v[104:107], a[106:107], a[74:75], v[104:107]// 000000007CDC: D3F30068 1DA2956A
	v_mfma_f32_16x16x32_fp8_fp8 v[104:107], a[108:109], a[76:77], v[104:107]// 000000007CE4: D3F30068 1DA2996C
	ds_read_b128 a[24:27], v2 offset:13952                     // 000000007CEC: DBFE3680 18000002
	ds_read_b128 a[28:31], v2 offset:14016                     // 000000007CF4: DBFE36C0 1C000002
	v_mfma_f32_16x16x32_fp8_fp8 v[104:107], a[110:111], a[78:79], v[104:107]// 000000007CFC: D3F30068 1DA29D6E
	v_mfma_f32_16x16x32_fp8_fp8 v[108:111], a[104:105], a[80:81], v[108:111]// 000000007D04: D3F3006C 1DB2A168
	s_add_u32 s60, 0x180, s80                                  // 000000007D0C: 803C50FF 00000180
	s_cmp_lt_u32 s60, s81                                      // 000000007D14: BF0A513C
	s_cselect_b32 s57, s57, 0                                  // 000000007D18: 85398039
	v_mfma_f32_16x16x32_fp8_fp8 v[108:111], a[106:107], a[82:83], v[108:111]// 000000007D1C: D3F3006C 1DB2A56A
	s_add_u32 s60, 0x100, s80                                  // 000000007D24: 803C50FF 00000100
	s_cmp_lt_u32 s60, s81                                      // 000000007D2C: BF0A513C
	s_cselect_b32 s58, s58, 0                                  // 000000007D30: 853A803A
	v_mfma_f32_16x16x32_fp8_fp8 v[108:111], a[108:109], a[84:85], v[108:111]// 000000007D34: D3F3006C 1DB2A96C
	ds_read_b128 a[32:35], v2 offset:14464                     // 000000007D3C: DBFE3880 20000002
	ds_read_b128 a[36:39], v2 offset:14528                     // 000000007D44: DBFE38C0 24000002
	s_add_u32 s60, 0x100, s80                                  // 000000007D4C: 803C50FF 00000100
	s_cmp_lt_u32 s60, s81                                      // 000000007D54: BF0A513C
	s_cselect_b32 s83, s83, 0                                  // 000000007D58: 85538053
	v_mfma_f32_16x16x32_fp8_fp8 v[108:111], a[110:111], a[86:87], v[108:111]// 000000007D5C: D3F3006C 1DB2AD6E
	s_add_u32 s24, s58, s24                                    // 000000007D64: 8018183A
	s_addc_u32 s25, 0, s25                                     // 000000007D68: 82191980
	v_mfma_f32_16x16x32_fp8_fp8 v[112:115], a[104:105], a[88:89], v[112:115]// 000000007D6C: D3F30070 1DC2B168
	s_add_u32 s20, s57, s20                                    // 000000007D74: 80141439
	s_addc_u32 s21, 0, s21                                     // 000000007D78: 82151580
	v_mfma_f32_16x16x32_fp8_fp8 v[112:115], a[106:107], a[90:91], v[112:115]// 000000007D7C: D3F30070 1DC2B56A
	s_add_u32 s84, s83, s84                                    // 000000007D84: 80545453
	s_addc_u32 s85, 0, s85                                     // 000000007D88: 82555580
	v_mfma_f32_16x16x32_fp8_fp8 v[112:115], a[108:109], a[92:93], v[112:115]// 000000007D8C: D3F30070 1DC2B96C
	ds_read_b128 a[40:43], v2 offset:14976                     // 000000007D94: DBFE3A80 28000002
	ds_read_b128 a[44:47], v2 offset:15040                     // 000000007D9C: DBFE3AC0 2C000002
	v_mfma_f32_16x16x32_fp8_fp8 v[112:115], a[110:111], a[94:95], v[112:115]// 000000007DA4: D3F30070 1DC2BD6E
	s_addk_i32 s80, 0x80                                       // 000000007DAC: B7500080
	s_cmp_lt_i32 s80, s81                                      // 000000007DB0: BF045150
	s_cbranch_scc0 label_1680                                  // 000000007DB4: BF84018F
	s_waitcnt vmcnt(14) lgkmcnt(0)                             // 000000007DB8: BF8C007E
	v_mfma_f32_16x16x32_fp8_fp8 v[68:71], a[112:113], a[0:1], v[68:71]// 000000007DBC: D3F30044 1D120170
	buffer_load_dwordx4 a[104:107], v66, s[24:27], 0 offen     // 000000007DC4: E05C1000 80866842
	v_mfma_f32_16x16x32_fp8_fp8 v[68:71], a[114:115], a[2:3], v[68:71]// 000000007DCC: D3F30044 1D120572
	v_mfma_f32_16x16x32_fp8_fp8 v[68:71], a[116:117], a[4:5], v[68:71]// 000000007DD4: D3F30044 1D120974
	v_mfma_f32_16x16x32_fp8_fp8 v[68:71], a[118:119], a[6:7], v[68:71]// 000000007DDC: D3F30044 1D120D76
	v_mfma_f32_16x16x32_fp8_fp8 v[72:75], a[112:113], a[8:9], v[72:75]// 000000007DE4: D3F30048 1D221170
	buffer_load_dwordx4 a[108:111], v66, s[24:27], 0 offen offset:1024// 000000007DEC: E05C1400 80866C42
	buffer_load_dword v54, s[20:23], 0 offen lds               // 000000007DF4: E0511000 80050036
	s_add_u32 m0, 0x100, s48                                   // 000000007DFC: 807C30FF 00000100
	v_mfma_f32_16x16x32_fp8_fp8 v[72:75], a[114:115], a[10:11], v[72:75]// 000000007E04: D3F30048 1D221572
	v_mfma_f32_16x16x32_fp8_fp8 v[72:75], a[116:117], a[12:13], v[72:75]// 000000007E0C: D3F30048 1D221974
	buffer_load_dword v55, s[20:23], 0 offen lds               // 000000007E14: E0511000 80050037
	s_add_u32 m0, 0x200, s48                                   // 000000007E1C: 807C30FF 00000200
	v_mfma_f32_16x16x32_fp8_fp8 v[72:75], a[118:119], a[14:15], v[72:75]// 000000007E24: D3F30048 1D221D76
	v_mfma_f32_16x16x32_fp8_fp8 v[76:79], a[112:113], a[16:17], v[76:79]// 000000007E2C: D3F3004C 1D322170
	buffer_load_dword v56, s[20:23], 0 offen lds               // 000000007E34: E0511000 80050038
	s_add_u32 m0, 0x300, s48                                   // 000000007E3C: 807C30FF 00000300
	v_mfma_f32_16x16x32_fp8_fp8 v[76:79], a[114:115], a[18:19], v[76:79]// 000000007E44: D3F3004C 1D322572
	v_mfma_f32_16x16x32_fp8_fp8 v[76:79], a[116:117], a[20:21], v[76:79]// 000000007E4C: D3F3004C 1D322974
	buffer_load_dword v57, s[20:23], 0 offen lds               // 000000007E54: E0511000 80050039
	s_add_u32 m0, 0x400, s48                                   // 000000007E5C: 807C30FF 00000400
	v_mfma_f32_16x16x32_fp8_fp8 v[76:79], a[118:119], a[22:23], v[76:79]// 000000007E64: D3F3004C 1D322D76
	v_mfma_f32_16x16x32_fp8_fp8 v[80:83], a[112:113], a[24:25], v[80:83]// 000000007E6C: D3F30050 1D423170
	buffer_load_dword v58, s[20:23], 0 offen lds               // 000000007E74: E0511000 8005003A
	s_add_u32 m0, 0x500, s48                                   // 000000007E7C: 807C30FF 00000500
	v_mfma_f32_16x16x32_fp8_fp8 v[80:83], a[114:115], a[26:27], v[80:83]// 000000007E84: D3F30050 1D423572
	v_mfma_f32_16x16x32_fp8_fp8 v[80:83], a[116:117], a[28:29], v[80:83]// 000000007E8C: D3F30050 1D423974
	buffer_load_dword v59, s[20:23], 0 offen lds               // 000000007E94: E0511000 8005003B
	s_add_u32 m0, 0x600, s48                                   // 000000007E9C: 807C30FF 00000600
	v_mfma_f32_16x16x32_fp8_fp8 v[80:83], a[118:119], a[30:31], v[80:83]// 000000007EA4: D3F30050 1D423D76
	v_mfma_f32_16x16x32_fp8_fp8 v[84:87], a[112:113], a[32:33], v[84:87]// 000000007EAC: D3F30054 1D524170
	buffer_load_dword v60, s[20:23], 0 offen lds               // 000000007EB4: E0511000 8005003C
	s_add_u32 m0, 0x700, s48                                   // 000000007EBC: 807C30FF 00000700
	v_mfma_f32_16x16x32_fp8_fp8 v[84:87], a[114:115], a[34:35], v[84:87]// 000000007EC4: D3F30054 1D524572
	v_mfma_f32_16x16x32_fp8_fp8 v[84:87], a[116:117], a[36:37], v[84:87]// 000000007ECC: D3F30054 1D524974
	buffer_load_dword v61, s[20:23], 0 offen lds               // 000000007ED4: E0511000 8005003D
	s_add_u32 m0, 0x800, s48                                   // 000000007EDC: 807C30FF 00000800
	v_mfma_f32_16x16x32_fp8_fp8 v[84:87], a[118:119], a[38:39], v[84:87]// 000000007EE4: D3F30054 1D524D76
	v_mfma_f32_16x16x32_fp8_fp8 v[88:91], a[112:113], a[40:41], v[88:91]// 000000007EEC: D3F30058 1D625170
	buffer_load_dword v62, s[20:23], 0 offen lds               // 000000007EF4: E0511000 8005003E
	s_add_u32 m0, 0x900, s48                                   // 000000007EFC: 807C30FF 00000900
	v_mfma_f32_16x16x32_fp8_fp8 v[88:91], a[114:115], a[42:43], v[88:91]// 000000007F04: D3F30058 1D625572
	v_mfma_f32_16x16x32_fp8_fp8 v[88:91], a[116:117], a[44:45], v[88:91]// 000000007F0C: D3F30058 1D625974
	buffer_load_dword v63, s[20:23], 0 offen lds               // 000000007F14: E0511000 8005003F
	s_add_u32 m0, 0xa00, s48                                   // 000000007F1C: 807C30FF 00000A00
	v_mfma_f32_16x16x32_fp8_fp8 v[88:91], a[118:119], a[46:47], v[88:91]// 000000007F24: D3F30058 1D625D76
	buffer_load_dword v64, s[20:23], 0 offen lds               // 000000007F2C: E0511000 80050040
	s_add_u32 m0, 0xb00, s48                                   // 000000007F34: 807C30FF 00000B00
	buffer_load_dword v65, s[20:23], 0 offen lds               // 000000007F3C: E0511000 80050041
	s_add_u32 m0, 0, s49                                       // 000000007F44: 807C3180
	s_waitcnt vmcnt(14)                                        // 000000007F48: BF8C0F7E
	s_barrier                                                  // 000000007F4C: BF8A0000
	v_mfma_f32_16x16x32_fp8_fp8 v[92:95], a[96:97], a[0:1], v[92:95]// 000000007F50: D3F3005C 1D720160
	buffer_load_dwordx4 a[112:115], v66, s[84:87], 0 offen     // 000000007F58: E05C1000 80957042
	v_mfma_f32_16x16x32_fp8_fp8 v[92:95], a[98:99], a[2:3], v[92:95]// 000000007F60: D3F3005C 1D720562
	v_mfma_f32_16x16x32_fp8_fp8 v[92:95], a[100:101], a[4:5], v[92:95]// 000000007F68: D3F3005C 1D720964
	ds_read_b128 a[48:51], v2 offset:24832                     // 000000007F70: DBFE6100 30000002
	ds_read_b128 a[52:55], v2 offset:24896                     // 000000007F78: DBFE6140 34000002
	v_mfma_f32_16x16x32_fp8_fp8 v[92:95], a[102:103], a[6:7], v[92:95]// 000000007F80: D3F3005C 1D720D66
	v_mfma_f32_16x16x32_fp8_fp8 v[96:99], a[96:97], a[8:9], v[96:99]// 000000007F88: D3F30060 1D821160
	buffer_load_dwordx4 a[116:119], v66, s[84:87], 0 offen offset:1024// 000000007F90: E05C1400 80957442
	v_mfma_f32_16x16x32_fp8_fp8 v[96:99], a[98:99], a[10:11], v[96:99]// 000000007F98: D3F30060 1D821562
	v_mfma_f32_16x16x32_fp8_fp8 v[96:99], a[100:101], a[12:13], v[96:99]// 000000007FA0: D3F30060 1D821964
	ds_read_b128 a[56:59], v2 offset:25344                     // 000000007FA8: DBFE6300 38000002
	ds_read_b128 a[60:63], v2 offset:25408                     // 000000007FB0: DBFE6340 3C000002
	v_mfma_f32_16x16x32_fp8_fp8 v[96:99], a[102:103], a[14:15], v[96:99]// 000000007FB8: D3F30060 1D821D66
	v_mfma_f32_16x16x32_fp8_fp8 v[100:103], a[96:97], a[16:17], v[100:103]// 000000007FC0: D3F30064 1D922160
	v_mfma_f32_16x16x32_fp8_fp8 v[100:103], a[98:99], a[18:19], v[100:103]// 000000007FC8: D3F30064 1D922562
	v_mfma_f32_16x16x32_fp8_fp8 v[100:103], a[100:101], a[20:21], v[100:103]// 000000007FD0: D3F30064 1D922964
	ds_read_b128 a[64:67], v2 offset:25856                     // 000000007FD8: DBFE6500 40000002
	ds_read_b128 a[68:71], v2 offset:25920                     // 000000007FE0: DBFE6540 44000002
	v_mfma_f32_16x16x32_fp8_fp8 v[100:103], a[102:103], a[22:23], v[100:103]// 000000007FE8: D3F30064 1D922D66
	v_mfma_f32_16x16x32_fp8_fp8 v[104:107], a[96:97], a[24:25], v[104:107]// 000000007FF0: D3F30068 1DA23160
	v_mfma_f32_16x16x32_fp8_fp8 v[104:107], a[98:99], a[26:27], v[104:107]// 000000007FF8: D3F30068 1DA23562
	v_mfma_f32_16x16x32_fp8_fp8 v[104:107], a[100:101], a[28:29], v[104:107]// 000000008000: D3F30068 1DA23964
	ds_read_b128 a[72:75], v2 offset:26368                     // 000000008008: DBFE6700 48000002
	ds_read_b128 a[76:79], v2 offset:26432                     // 000000008010: DBFE6740 4C000002
	v_mfma_f32_16x16x32_fp8_fp8 v[104:107], a[102:103], a[30:31], v[104:107]// 000000008018: D3F30068 1DA23D66
	v_mfma_f32_16x16x32_fp8_fp8 v[108:111], a[96:97], a[32:33], v[108:111]// 000000008020: D3F3006C 1DB24160
	s_add_u32 s60, 0x180, s80                                  // 000000008028: 803C50FF 00000180
	s_cmp_lt_u32 s60, s81                                      // 000000008030: BF0A513C
	s_cselect_b32 s57, s57, 0                                  // 000000008034: 85398039
	v_mfma_f32_16x16x32_fp8_fp8 v[108:111], a[98:99], a[34:35], v[108:111]// 000000008038: D3F3006C 1DB24562
	s_add_u32 s60, 0x100, s80                                  // 000000008040: 803C50FF 00000100
	s_cmp_lt_u32 s60, s81                                      // 000000008048: BF0A513C
	s_cselect_b32 s58, s58, 0                                  // 00000000804C: 853A803A
	v_mfma_f32_16x16x32_fp8_fp8 v[108:111], a[100:101], a[36:37], v[108:111]// 000000008050: D3F3006C 1DB24964
	ds_read_b128 a[80:83], v2 offset:26880                     // 000000008058: DBFE6900 50000002
	ds_read_b128 a[84:87], v2 offset:26944                     // 000000008060: DBFE6940 54000002
	s_add_u32 s60, 0x100, s80                                  // 000000008068: 803C50FF 00000100
	s_cmp_lt_u32 s60, s81                                      // 000000008070: BF0A513C
	s_cselect_b32 s83, s83, 0                                  // 000000008074: 85538053
	v_mfma_f32_16x16x32_fp8_fp8 v[108:111], a[102:103], a[38:39], v[108:111]// 000000008078: D3F3006C 1DB24D66
	s_add_u32 s24, s58, s24                                    // 000000008080: 8018183A
	s_addc_u32 s25, 0, s25                                     // 000000008084: 82191980
	v_mfma_f32_16x16x32_fp8_fp8 v[112:115], a[96:97], a[40:41], v[112:115]// 000000008088: D3F30070 1DC25160
	s_add_u32 s20, s57, s20                                    // 000000008090: 80141439
	s_addc_u32 s21, 0, s21                                     // 000000008094: 82151580
	v_mfma_f32_16x16x32_fp8_fp8 v[112:115], a[98:99], a[42:43], v[112:115]// 000000008098: D3F30070 1DC25562
	s_add_u32 s84, s83, s84                                    // 0000000080A0: 80545453
	s_addc_u32 s85, 0, s85                                     // 0000000080A4: 82555580
	v_mfma_f32_16x16x32_fp8_fp8 v[112:115], a[100:101], a[44:45], v[112:115]// 0000000080A8: D3F30070 1DC25964
	ds_read_b128 a[88:91], v2 offset:27392                     // 0000000080B0: DBFE6B00 58000002
	ds_read_b128 a[92:95], v2 offset:27456                     // 0000000080B8: DBFE6B40 5C000002
	v_mfma_f32_16x16x32_fp8_fp8 v[112:115], a[102:103], a[46:47], v[112:115]// 0000000080C0: D3F30070 1DC25D66
	s_addk_i32 s80, 0x80                                       // 0000000080C8: B7500080
	s_cmp_lt_i32 s80, s81                                      // 0000000080CC: BF045150
	s_cbranch_scc0 label_1680                                  // 0000000080D0: BF8400C8
	s_waitcnt vmcnt(14) lgkmcnt(0)                             // 0000000080D4: BF8C007E
	v_mfma_f32_16x16x32_fp8_fp8 v[68:71], a[104:105], a[48:49], v[68:71]// 0000000080D8: D3F30044 1D126168
	buffer_load_dwordx4 a[96:99], v66, s[24:27], 0 offen       // 0000000080E0: E05C1000 80866042
	v_mfma_f32_16x16x32_fp8_fp8 v[68:71], a[106:107], a[50:51], v[68:71]// 0000000080E8: D3F30044 1D12656A
	v_mfma_f32_16x16x32_fp8_fp8 v[68:71], a[108:109], a[52:53], v[68:71]// 0000000080F0: D3F30044 1D12696C
	v_mfma_f32_16x16x32_fp8_fp8 v[68:71], a[110:111], a[54:55], v[68:71]// 0000000080F8: D3F30044 1D126D6E
	v_mfma_f32_16x16x32_fp8_fp8 v[72:75], a[104:105], a[56:57], v[72:75]// 000000008100: D3F30048 1D227168
	buffer_load_dwordx4 a[100:103], v66, s[24:27], 0 offen offset:1024// 000000008108: E05C1400 80866442
	buffer_load_dword v54, s[20:23], 0 offen lds               // 000000008110: E0511000 80050036
	s_add_u32 m0, 0x100, s49                                   // 000000008118: 807C31FF 00000100
	v_mfma_f32_16x16x32_fp8_fp8 v[72:75], a[106:107], a[58:59], v[72:75]// 000000008120: D3F30048 1D22756A
	v_mfma_f32_16x16x32_fp8_fp8 v[72:75], a[108:109], a[60:61], v[72:75]// 000000008128: D3F30048 1D22796C
	buffer_load_dword v55, s[20:23], 0 offen lds               // 000000008130: E0511000 80050037
	s_add_u32 m0, 0x200, s49                                   // 000000008138: 807C31FF 00000200
	v_mfma_f32_16x16x32_fp8_fp8 v[72:75], a[110:111], a[62:63], v[72:75]// 000000008140: D3F30048 1D227D6E
	v_mfma_f32_16x16x32_fp8_fp8 v[76:79], a[104:105], a[64:65], v[76:79]// 000000008148: D3F3004C 1D328168
	buffer_load_dword v56, s[20:23], 0 offen lds               // 000000008150: E0511000 80050038
	s_add_u32 m0, 0x300, s49                                   // 000000008158: 807C31FF 00000300
	v_mfma_f32_16x16x32_fp8_fp8 v[76:79], a[106:107], a[66:67], v[76:79]// 000000008160: D3F3004C 1D32856A
	v_mfma_f32_16x16x32_fp8_fp8 v[76:79], a[108:109], a[68:69], v[76:79]// 000000008168: D3F3004C 1D32896C
	buffer_load_dword v57, s[20:23], 0 offen lds               // 000000008170: E0511000 80050039
	s_add_u32 m0, 0x400, s49                                   // 000000008178: 807C31FF 00000400
	v_mfma_f32_16x16x32_fp8_fp8 v[76:79], a[110:111], a[70:71], v[76:79]// 000000008180: D3F3004C 1D328D6E
	v_mfma_f32_16x16x32_fp8_fp8 v[80:83], a[104:105], a[72:73], v[80:83]// 000000008188: D3F30050 1D429168
	buffer_load_dword v58, s[20:23], 0 offen lds               // 000000008190: E0511000 8005003A
	s_add_u32 m0, 0x500, s49                                   // 000000008198: 807C31FF 00000500
	v_mfma_f32_16x16x32_fp8_fp8 v[80:83], a[106:107], a[74:75], v[80:83]// 0000000081A0: D3F30050 1D42956A
	v_mfma_f32_16x16x32_fp8_fp8 v[80:83], a[108:109], a[76:77], v[80:83]// 0000000081A8: D3F30050 1D42996C
	buffer_load_dword v59, s[20:23], 0 offen lds               // 0000000081B0: E0511000 8005003B
	s_add_u32 m0, 0x600, s49                                   // 0000000081B8: 807C31FF 00000600
	v_mfma_f32_16x16x32_fp8_fp8 v[80:83], a[110:111], a[78:79], v[80:83]// 0000000081C0: D3F30050 1D429D6E
	v_mfma_f32_16x16x32_fp8_fp8 v[84:87], a[104:105], a[80:81], v[84:87]// 0000000081C8: D3F30054 1D52A168
	buffer_load_dword v60, s[20:23], 0 offen lds               // 0000000081D0: E0511000 8005003C
	s_add_u32 m0, 0x700, s49                                   // 0000000081D8: 807C31FF 00000700
	v_mfma_f32_16x16x32_fp8_fp8 v[84:87], a[106:107], a[82:83], v[84:87]// 0000000081E0: D3F30054 1D52A56A
	v_mfma_f32_16x16x32_fp8_fp8 v[84:87], a[108:109], a[84:85], v[84:87]// 0000000081E8: D3F30054 1D52A96C
	buffer_load_dword v61, s[20:23], 0 offen lds               // 0000000081F0: E0511000 8005003D
	s_add_u32 m0, 0x800, s49                                   // 0000000081F8: 807C31FF 00000800
	v_mfma_f32_16x16x32_fp8_fp8 v[84:87], a[110:111], a[86:87], v[84:87]// 000000008200: D3F30054 1D52AD6E
	v_mfma_f32_16x16x32_fp8_fp8 v[88:91], a[104:105], a[88:89], v[88:91]// 000000008208: D3F30058 1D62B168
	buffer_load_dword v62, s[20:23], 0 offen lds               // 000000008210: E0511000 8005003E
	s_add_u32 m0, 0x900, s49                                   // 000000008218: 807C31FF 00000900
	v_mfma_f32_16x16x32_fp8_fp8 v[88:91], a[106:107], a[90:91], v[88:91]// 000000008220: D3F30058 1D62B56A
	v_mfma_f32_16x16x32_fp8_fp8 v[88:91], a[108:109], a[92:93], v[88:91]// 000000008228: D3F30058 1D62B96C
	buffer_load_dword v63, s[20:23], 0 offen lds               // 000000008230: E0511000 8005003F
	s_add_u32 m0, 0xa00, s49                                   // 000000008238: 807C31FF 00000A00
	v_mfma_f32_16x16x32_fp8_fp8 v[88:91], a[110:111], a[94:95], v[88:91]// 000000008240: D3F30058 1D62BD6E
	buffer_load_dword v64, s[20:23], 0 offen lds               // 000000008248: E0511000 80050040
	s_add_u32 m0, 0xb00, s49                                   // 000000008250: 807C31FF 00000B00
	buffer_load_dword v65, s[20:23], 0 offen lds               // 000000008258: E0511000 80050041
	s_add_u32 m0, 0, s50                                       // 000000008260: 807C3280
	s_waitcnt vmcnt(14)                                        // 000000008264: BF8C0F7E
	s_barrier                                                  // 000000008268: BF8A0000
	v_mfma_f32_16x16x32_fp8_fp8 v[92:95], a[112:113], a[48:49], v[92:95]// 00000000826C: D3F3005C 1D726170
	buffer_load_dwordx4 a[104:107], v66, s[84:87], 0 offen     // 000000008274: E05C1000 80956842
	v_mfma_f32_16x16x32_fp8_fp8 v[92:95], a[114:115], a[50:51], v[92:95]// 00000000827C: D3F3005C 1D726572
	v_mfma_f32_16x16x32_fp8_fp8 v[92:95], a[116:117], a[52:53], v[92:95]// 000000008284: D3F3005C 1D726974
	ds_read_b128 a[0:3], v2                                    // 00000000828C: DBFE0000 00000002
	ds_read_b128 a[4:7], v2 offset:64                          // 000000008294: DBFE0040 04000002
	v_mfma_f32_16x16x32_fp8_fp8 v[92:95], a[118:119], a[54:55], v[92:95]// 00000000829C: D3F3005C 1D726D76
	v_mfma_f32_16x16x32_fp8_fp8 v[96:99], a[112:113], a[56:57], v[96:99]// 0000000082A4: D3F30060 1D827170
	buffer_load_dwordx4 a[108:111], v66, s[84:87], 0 offen offset:1024// 0000000082AC: E05C1400 80956C42
	v_mfma_f32_16x16x32_fp8_fp8 v[96:99], a[114:115], a[58:59], v[96:99]// 0000000082B4: D3F30060 1D827572
	v_mfma_f32_16x16x32_fp8_fp8 v[96:99], a[116:117], a[60:61], v[96:99]// 0000000082BC: D3F30060 1D827974
	ds_read_b128 a[8:11], v2 offset:512                        // 0000000082C4: DBFE0200 08000002
	ds_read_b128 a[12:15], v2 offset:576                       // 0000000082CC: DBFE0240 0C000002
	v_mfma_f32_16x16x32_fp8_fp8 v[96:99], a[118:119], a[62:63], v[96:99]// 0000000082D4: D3F30060 1D827D76
	v_mfma_f32_16x16x32_fp8_fp8 v[100:103], a[112:113], a[64:65], v[100:103]// 0000000082DC: D3F30064 1D928170
	v_mfma_f32_16x16x32_fp8_fp8 v[100:103], a[114:115], a[66:67], v[100:103]// 0000000082E4: D3F30064 1D928572
	v_mfma_f32_16x16x32_fp8_fp8 v[100:103], a[116:117], a[68:69], v[100:103]// 0000000082EC: D3F30064 1D928974
	ds_read_b128 a[16:19], v2 offset:1024                      // 0000000082F4: DBFE0400 10000002
	ds_read_b128 a[20:23], v2 offset:1088                      // 0000000082FC: DBFE0440 14000002
	v_mfma_f32_16x16x32_fp8_fp8 v[100:103], a[118:119], a[70:71], v[100:103]// 000000008304: D3F30064 1D928D76
	v_mfma_f32_16x16x32_fp8_fp8 v[104:107], a[112:113], a[72:73], v[104:107]// 00000000830C: D3F30068 1DA29170
	v_mfma_f32_16x16x32_fp8_fp8 v[104:107], a[114:115], a[74:75], v[104:107]// 000000008314: D3F30068 1DA29572
	v_mfma_f32_16x16x32_fp8_fp8 v[104:107], a[116:117], a[76:77], v[104:107]// 00000000831C: D3F30068 1DA29974
	ds_read_b128 a[24:27], v2 offset:1536                      // 000000008324: DBFE0600 18000002
	ds_read_b128 a[28:31], v2 offset:1600                      // 00000000832C: DBFE0640 1C000002
	v_mfma_f32_16x16x32_fp8_fp8 v[104:107], a[118:119], a[78:79], v[104:107]// 000000008334: D3F30068 1DA29D76
	v_mfma_f32_16x16x32_fp8_fp8 v[108:111], a[112:113], a[80:81], v[108:111]// 00000000833C: D3F3006C 1DB2A170
	s_add_u32 s60, 0x180, s80                                  // 000000008344: 803C50FF 00000180
	s_cmp_lt_u32 s60, s81                                      // 00000000834C: BF0A513C
	s_cselect_b32 s57, s57, 0                                  // 000000008350: 85398039
	v_mfma_f32_16x16x32_fp8_fp8 v[108:111], a[114:115], a[82:83], v[108:111]// 000000008354: D3F3006C 1DB2A572
	s_add_u32 s60, 0x100, s80                                  // 00000000835C: 803C50FF 00000100
	s_cmp_lt_u32 s60, s81                                      // 000000008364: BF0A513C
	s_cselect_b32 s58, s58, 0                                  // 000000008368: 853A803A
	v_mfma_f32_16x16x32_fp8_fp8 v[108:111], a[116:117], a[84:85], v[108:111]// 00000000836C: D3F3006C 1DB2A974
	ds_read_b128 a[32:35], v2 offset:2048                      // 000000008374: DBFE0800 20000002
	ds_read_b128 a[36:39], v2 offset:2112                      // 00000000837C: DBFE0840 24000002
	s_add_u32 s60, 0x100, s80                                  // 000000008384: 803C50FF 00000100
	s_cmp_lt_u32 s60, s81                                      // 00000000838C: BF0A513C
	s_cselect_b32 s83, s83, 0                                  // 000000008390: 85538053
	v_mfma_f32_16x16x32_fp8_fp8 v[108:111], a[118:119], a[86:87], v[108:111]// 000000008394: D3F3006C 1DB2AD76
	s_add_u32 s24, s58, s24                                    // 00000000839C: 8018183A
	s_addc_u32 s25, 0, s25                                     // 0000000083A0: 82191980
	v_mfma_f32_16x16x32_fp8_fp8 v[112:115], a[112:113], a[88:89], v[112:115]// 0000000083A4: D3F30070 1DC2B170
	s_add_u32 s20, s57, s20                                    // 0000000083AC: 80141439
	s_addc_u32 s21, 0, s21                                     // 0000000083B0: 82151580
	v_mfma_f32_16x16x32_fp8_fp8 v[112:115], a[114:115], a[90:91], v[112:115]// 0000000083B4: D3F30070 1DC2B572
	s_add_u32 s84, s83, s84                                    // 0000000083BC: 80545453
	s_addc_u32 s85, 0, s85                                     // 0000000083C0: 82555580
	v_mfma_f32_16x16x32_fp8_fp8 v[112:115], a[116:117], a[92:93], v[112:115]// 0000000083C4: D3F30070 1DC2B974
	ds_read_b128 a[40:43], v2 offset:2560                      // 0000000083CC: DBFE0A00 28000002
	ds_read_b128 a[44:47], v2 offset:2624                      // 0000000083D4: DBFE0A40 2C000002
	v_mfma_f32_16x16x32_fp8_fp8 v[112:115], a[118:119], a[94:95], v[112:115]// 0000000083DC: D3F30070 1DC2BD76
	s_addk_i32 s80, 0x80                                       // 0000000083E4: B7500080
	s_cmp_lt_i32 s80, s81                                      // 0000000083E8: BF045150
	s_cbranch_scc0 label_1680                                  // 0000000083EC: BF840001
	s_branch label_11D5                                        // 0000000083F0: BF82FB55

00000000000083f4 <label_1680>:
	v_mul_f32_dpp v68, v24, v68 row_newbcast:0 row_mask:0xf bank_mask:0xf// 0000000083F4: 0A8888FA FF015018
	v_mul_f32_dpp v69, v24, v69 row_newbcast:1 row_mask:0xf bank_mask:0xf// 0000000083FC: 0A8A8AFA FF015118
	v_mul_f32_dpp v70, v24, v70 row_newbcast:2 row_mask:0xf bank_mask:0xf// 000000008404: 0A8C8CFA FF015218
	v_mul_f32_dpp v71, v24, v71 row_newbcast:3 row_mask:0xf bank_mask:0xf// 00000000840C: 0A8E8EFA FF015318
	v_mul_f32_dpp v72, v24, v72 row_newbcast:0 row_mask:0xf bank_mask:0xf// 000000008414: 0A9090FA FF015018
	v_mul_f32_dpp v73, v24, v73 row_newbcast:1 row_mask:0xf bank_mask:0xf// 00000000841C: 0A9292FA FF015118
	v_mul_f32_dpp v74, v24, v74 row_newbcast:2 row_mask:0xf bank_mask:0xf// 000000008424: 0A9494FA FF015218
	v_mul_f32_dpp v75, v24, v75 row_newbcast:3 row_mask:0xf bank_mask:0xf// 00000000842C: 0A9696FA FF015318
	v_mul_f32_dpp v76, v24, v76 row_newbcast:0 row_mask:0xf bank_mask:0xf// 000000008434: 0A9898FA FF015018
	v_mul_f32_dpp v77, v24, v77 row_newbcast:1 row_mask:0xf bank_mask:0xf// 00000000843C: 0A9A9AFA FF015118
	v_mul_f32_dpp v78, v24, v78 row_newbcast:2 row_mask:0xf bank_mask:0xf// 000000008444: 0A9C9CFA FF015218
	v_mul_f32_dpp v79, v24, v79 row_newbcast:3 row_mask:0xf bank_mask:0xf// 00000000844C: 0A9E9EFA FF015318
	v_mul_f32_dpp v80, v24, v80 row_newbcast:0 row_mask:0xf bank_mask:0xf// 000000008454: 0AA0A0FA FF015018
	v_mul_f32_dpp v81, v24, v81 row_newbcast:1 row_mask:0xf bank_mask:0xf// 00000000845C: 0AA2A2FA FF015118
	v_mul_f32_dpp v82, v24, v82 row_newbcast:2 row_mask:0xf bank_mask:0xf// 000000008464: 0AA4A4FA FF015218
	v_mul_f32_dpp v83, v24, v83 row_newbcast:3 row_mask:0xf bank_mask:0xf// 00000000846C: 0AA6A6FA FF015318
	v_mul_f32_dpp v84, v24, v84 row_newbcast:0 row_mask:0xf bank_mask:0xf// 000000008474: 0AA8A8FA FF015018
	v_mul_f32_dpp v85, v24, v85 row_newbcast:1 row_mask:0xf bank_mask:0xf// 00000000847C: 0AAAAAFA FF015118
	v_mul_f32_dpp v86, v24, v86 row_newbcast:2 row_mask:0xf bank_mask:0xf// 000000008484: 0AACACFA FF015218
	v_mul_f32_dpp v87, v24, v87 row_newbcast:3 row_mask:0xf bank_mask:0xf// 00000000848C: 0AAEAEFA FF015318
	v_mul_f32_dpp v88, v24, v88 row_newbcast:0 row_mask:0xf bank_mask:0xf// 000000008494: 0AB0B0FA FF015018
	v_mul_f32_dpp v89, v24, v89 row_newbcast:1 row_mask:0xf bank_mask:0xf// 00000000849C: 0AB2B2FA FF015118
	v_mul_f32_dpp v90, v24, v90 row_newbcast:2 row_mask:0xf bank_mask:0xf// 0000000084A4: 0AB4B4FA FF015218
	v_mul_f32_dpp v91, v24, v91 row_newbcast:3 row_mask:0xf bank_mask:0xf// 0000000084AC: 0AB6B6FA FF015318
	v_mul_f32_dpp v92, v27, v92 row_newbcast:0 row_mask:0xf bank_mask:0xf// 0000000084B4: 0AB8B8FA FF01501B
	v_mul_f32_dpp v93, v27, v93 row_newbcast:1 row_mask:0xf bank_mask:0xf// 0000000084BC: 0ABABAFA FF01511B
	v_mul_f32_dpp v94, v27, v94 row_newbcast:2 row_mask:0xf bank_mask:0xf// 0000000084C4: 0ABCBCFA FF01521B
	v_mul_f32_dpp v95, v27, v95 row_newbcast:3 row_mask:0xf bank_mask:0xf// 0000000084CC: 0ABEBEFA FF01531B
	v_mul_f32_dpp v96, v27, v96 row_newbcast:0 row_mask:0xf bank_mask:0xf// 0000000084D4: 0AC0C0FA FF01501B
	v_mul_f32_dpp v97, v27, v97 row_newbcast:1 row_mask:0xf bank_mask:0xf// 0000000084DC: 0AC2C2FA FF01511B
	v_mul_f32_dpp v98, v27, v98 row_newbcast:2 row_mask:0xf bank_mask:0xf// 0000000084E4: 0AC4C4FA FF01521B
	v_mul_f32_dpp v99, v27, v99 row_newbcast:3 row_mask:0xf bank_mask:0xf// 0000000084EC: 0AC6C6FA FF01531B
	v_mul_f32_dpp v100, v27, v100 row_newbcast:0 row_mask:0xf bank_mask:0xf// 0000000084F4: 0AC8C8FA FF01501B
	v_mul_f32_dpp v101, v27, v101 row_newbcast:1 row_mask:0xf bank_mask:0xf// 0000000084FC: 0ACACAFA FF01511B
	v_mul_f32_dpp v102, v27, v102 row_newbcast:2 row_mask:0xf bank_mask:0xf// 000000008504: 0ACCCCFA FF01521B
	v_mul_f32_dpp v103, v27, v103 row_newbcast:3 row_mask:0xf bank_mask:0xf// 00000000850C: 0ACECEFA FF01531B
	v_mul_f32_dpp v104, v27, v104 row_newbcast:0 row_mask:0xf bank_mask:0xf// 000000008514: 0AD0D0FA FF01501B
	v_mul_f32_dpp v105, v27, v105 row_newbcast:1 row_mask:0xf bank_mask:0xf// 00000000851C: 0AD2D2FA FF01511B
	v_mul_f32_dpp v106, v27, v106 row_newbcast:2 row_mask:0xf bank_mask:0xf// 000000008524: 0AD4D4FA FF01521B
	v_mul_f32_dpp v107, v27, v107 row_newbcast:3 row_mask:0xf bank_mask:0xf// 00000000852C: 0AD6D6FA FF01531B
	v_mul_f32_dpp v108, v27, v108 row_newbcast:0 row_mask:0xf bank_mask:0xf// 000000008534: 0AD8D8FA FF01501B
	v_mul_f32_dpp v109, v27, v109 row_newbcast:1 row_mask:0xf bank_mask:0xf// 00000000853C: 0ADADAFA FF01511B
	v_mul_f32_dpp v110, v27, v110 row_newbcast:2 row_mask:0xf bank_mask:0xf// 000000008544: 0ADCDCFA FF01521B
	v_mul_f32_dpp v111, v27, v111 row_newbcast:3 row_mask:0xf bank_mask:0xf// 00000000854C: 0ADEDEFA FF01531B
	v_mul_f32_dpp v112, v27, v112 row_newbcast:0 row_mask:0xf bank_mask:0xf// 000000008554: 0AE0E0FA FF01501B
	v_mul_f32_dpp v113, v27, v113 row_newbcast:1 row_mask:0xf bank_mask:0xf// 00000000855C: 0AE2E2FA FF01511B
	v_mul_f32_dpp v114, v27, v114 row_newbcast:2 row_mask:0xf bank_mask:0xf// 000000008564: 0AE4E4FA FF01521B
	v_mul_f32_dpp v115, v27, v115 row_newbcast:3 row_mask:0xf bank_mask:0xf// 00000000856C: 0AE6E6FA FF01531B
	v_mul_f32_e32 v36, v36, v116                               // 000000008574: 0A48E924
	v_mov_b32_e32 v4, v36                                      // 000000008578: 7E080324
	v_mov_b32_e32 v5, v4                                       // 00000000857C: 7E0A0304
	v_pk_mul_f32 v[68:69], v[4:5], v[68:69]                    // 000000008580: D3B14044 18028904
	v_pk_mul_f32 v[92:93], v[4:5], v[92:93]                    // 000000008588: D3B1405C 1802B904
	v_pk_mul_f32 v[70:71], v[4:5], v[70:71]                    // 000000008590: D3B14046 18028D04
	v_pk_mul_f32 v[94:95], v[4:5], v[94:95]                    // 000000008598: D3B1405E 1802BD04
	v_mul_f32_e32 v37, v37, v117                               // 0000000085A0: 0A4AEB25
	v_mov_b32_e32 v4, v37                                      // 0000000085A4: 7E080325
	v_mov_b32_e32 v5, v4                                       // 0000000085A8: 7E0A0304
	v_pk_mul_f32 v[72:73], v[4:5], v[72:73]                    // 0000000085AC: D3B14048 18029104
	v_pk_mul_f32 v[96:97], v[4:5], v[96:97]                    // 0000000085B4: D3B14060 1802C104
	v_pk_mul_f32 v[74:75], v[4:5], v[74:75]                    // 0000000085BC: D3B1404A 18029504
	v_pk_mul_f32 v[98:99], v[4:5], v[98:99]                    // 0000000085C4: D3B14062 1802C504
	v_mul_f32_e32 v38, v38, v118                               // 0000000085CC: 0A4CED26
	v_mov_b32_e32 v4, v38                                      // 0000000085D0: 7E080326
	v_mov_b32_e32 v5, v4                                       // 0000000085D4: 7E0A0304
	v_pk_mul_f32 v[76:77], v[4:5], v[76:77]                    // 0000000085D8: D3B1404C 18029904
	v_pk_mul_f32 v[100:101], v[4:5], v[100:101]                // 0000000085E0: D3B14064 1802C904
	v_pk_mul_f32 v[78:79], v[4:5], v[78:79]                    // 0000000085E8: D3B1404E 18029D04
	v_pk_mul_f32 v[102:103], v[4:5], v[102:103]                // 0000000085F0: D3B14066 1802CD04
	v_mul_f32_e32 v39, v39, v119                               // 0000000085F8: 0A4EEF27
	v_mov_b32_e32 v4, v39                                      // 0000000085FC: 7E080327
	v_mov_b32_e32 v5, v4                                       // 000000008600: 7E0A0304
	v_pk_mul_f32 v[80:81], v[4:5], v[80:81]                    // 000000008604: D3B14050 1802A104
	v_pk_mul_f32 v[104:105], v[4:5], v[104:105]                // 00000000860C: D3B14068 1802D104
	v_pk_mul_f32 v[82:83], v[4:5], v[82:83]                    // 000000008614: D3B14052 1802A504
	v_pk_mul_f32 v[106:107], v[4:5], v[106:107]                // 00000000861C: D3B1406A 1802D504
	v_mul_f32_e32 v40, v40, v120                               // 000000008624: 0A50F128
	v_mov_b32_e32 v4, v40                                      // 000000008628: 7E080328
	v_mov_b32_e32 v5, v4                                       // 00000000862C: 7E0A0304
	v_pk_mul_f32 v[84:85], v[4:5], v[84:85]                    // 000000008630: D3B14054 1802A904
	v_pk_mul_f32 v[108:109], v[4:5], v[108:109]                // 000000008638: D3B1406C 1802D904
	v_pk_mul_f32 v[86:87], v[4:5], v[86:87]                    // 000000008640: D3B14056 1802AD04
	v_pk_mul_f32 v[110:111], v[4:5], v[110:111]                // 000000008648: D3B1406E 1802DD04
	v_mul_f32_e32 v41, v41, v121                               // 000000008650: 0A52F329
	v_mov_b32_e32 v4, v41                                      // 000000008654: 7E080329
	v_mov_b32_e32 v5, v4                                       // 000000008658: 7E0A0304
	v_pk_mul_f32 v[88:89], v[4:5], v[88:89]                    // 00000000865C: D3B14058 1802B104
	v_pk_mul_f32 v[112:113], v[4:5], v[112:113]                // 000000008664: D3B14070 1802E104
	v_pk_mul_f32 v[90:91], v[4:5], v[90:91]                    // 00000000866C: D3B1405A 1802B504
	v_pk_mul_f32 v[114:115], v[4:5], v[114:115]                // 000000008674: D3B14072 1802E504
	s_cmp_eq_u32 s88, 0                                        // 00000000867C: BF068058
	s_cbranch_scc0 label_1BA1                                  // 000000008680: BF84047D
	s_cmp_eq_u32 s89, 0                                        // 000000008684: BF068059
	s_cbranch_scc1 label_181B                                  // 000000008688: BF8500F5
	v_mov_b32_e32 v8, v1                                       // 00000000868C: 7E100301
	v_mov_b32_e32 v9, v1                                       // 000000008690: 7E120301
	s_mov_b32 s60, s6                                          // 000000008694: BEBC0006
	s_mov_b32 s61, s6                                          // 000000008698: BEBD0006
	v_pk_mul_f32 v[4:5], v[68:69], v[68:69]                    // 00000000869C: D3B14004 18028944
	v_pk_mul_f32 v[6:7], v[70:71], v[70:71]                    // 0000000086A4: D3B14006 18028D46
	v_pk_fma_f32 v[4:5], v[4:5], s[78:79], v[8:9]              // 0000000086AC: D3B04004 1C209D04
	v_pk_fma_f32 v[6:7], v[6:7], s[78:79], v[8:9]              // 0000000086B4: D3B04006 1C209D06
	v_pk_mul_f32 v[4:5], v[4:5], v[68:69]                      // 0000000086BC: D3B14004 18028904
	v_pk_mul_f32 v[6:7], v[6:7], v[70:71]                      // 0000000086C4: D3B14006 18028D06
	v_pk_mul_f32 v[4:5], v[4:5], s[60:61]                      // 0000000086CC: D3B14004 18007904
	v_pk_mul_f32 v[6:7], v[6:7], s[60:61]                      // 0000000086D4: D3B14006 18007906
	v_exp_f32_e32 v4, v4                                       // 0000000086DC: 7E084104
	v_exp_f32_e32 v5, v5                                       // 0000000086E0: 7E0A4105
	v_exp_f32_e32 v6, v6                                       // 0000000086E4: 7E0C4106
	v_exp_f32_e32 v7, v7                                       // 0000000086E8: 7E0E4107
	v_add_f32_e64 v4, v4, 1.0                                  // 0000000086EC: D1010004 0001E504
	v_add_f32_e64 v5, v5, 1.0                                  // 0000000086F4: D1010005 0001E505
	v_add_f32_e64 v6, v6, 1.0                                  // 0000000086FC: D1010006 0001E506
	v_add_f32_e64 v7, v7, 1.0                                  // 000000008704: D1010007 0001E507
	v_rcp_f32_e32 v4, v4                                       // 00000000870C: 7E084504
	v_rcp_f32_e32 v5, v5                                       // 000000008710: 7E0A4505
	v_rcp_f32_e32 v6, v6                                       // 000000008714: 7E0C4506
	v_rcp_f32_e32 v7, v7                                       // 000000008718: 7E0E4507
	v_mul_f32_e32 v68, v68, v4                                 // 00000000871C: 0A880944
	v_mul_f32_e32 v69, v69, v5                                 // 000000008720: 0A8A0B45
	v_mul_f32_e32 v70, v70, v6                                 // 000000008724: 0A8C0D46
	v_mul_f32_e32 v71, v71, v7                                 // 000000008728: 0A8E0F47
	v_mul_f32_e32 v68, v68, v92                                // 00000000872C: 0A88B944
	v_mul_f32_e32 v69, v69, v93                                // 000000008730: 0A8ABB45
	v_mul_f32_e32 v70, v70, v94                                // 000000008734: 0A8CBD46
	v_mul_f32_e32 v71, v71, v95                                // 000000008738: 0A8EBF47
	v_pk_mul_f32 v[4:5], v[72:73], v[72:73]                    // 00000000873C: D3B14004 18029148
	v_pk_mul_f32 v[6:7], v[74:75], v[74:75]                    // 000000008744: D3B14006 1802954A
	v_pk_fma_f32 v[4:5], v[4:5], s[78:79], v[8:9]              // 00000000874C: D3B04004 1C209D04
	v_pk_fma_f32 v[6:7], v[6:7], s[78:79], v[8:9]              // 000000008754: D3B04006 1C209D06
	v_pk_mul_f32 v[4:5], v[4:5], v[72:73]                      // 00000000875C: D3B14004 18029104
	v_pk_mul_f32 v[6:7], v[6:7], v[74:75]                      // 000000008764: D3B14006 18029506
	v_pk_mul_f32 v[4:5], v[4:5], s[60:61]                      // 00000000876C: D3B14004 18007904
	v_pk_mul_f32 v[6:7], v[6:7], s[60:61]                      // 000000008774: D3B14006 18007906
	v_exp_f32_e32 v4, v4                                       // 00000000877C: 7E084104
	v_exp_f32_e32 v5, v5                                       // 000000008780: 7E0A4105
	v_exp_f32_e32 v6, v6                                       // 000000008784: 7E0C4106
	v_exp_f32_e32 v7, v7                                       // 000000008788: 7E0E4107
	v_add_f32_e64 v4, v4, 1.0                                  // 00000000878C: D1010004 0001E504
	v_add_f32_e64 v5, v5, 1.0                                  // 000000008794: D1010005 0001E505
	v_add_f32_e64 v6, v6, 1.0                                  // 00000000879C: D1010006 0001E506
	v_add_f32_e64 v7, v7, 1.0                                  // 0000000087A4: D1010007 0001E507
	v_rcp_f32_e32 v4, v4                                       // 0000000087AC: 7E084504
	v_rcp_f32_e32 v5, v5                                       // 0000000087B0: 7E0A4505
	v_rcp_f32_e32 v6, v6                                       // 0000000087B4: 7E0C4506
	v_rcp_f32_e32 v7, v7                                       // 0000000087B8: 7E0E4507
	v_mul_f32_e32 v72, v72, v4                                 // 0000000087BC: 0A900948
	v_mul_f32_e32 v73, v73, v5                                 // 0000000087C0: 0A920B49
	v_mul_f32_e32 v74, v74, v6                                 // 0000000087C4: 0A940D4A
	v_mul_f32_e32 v75, v75, v7                                 // 0000000087C8: 0A960F4B
	v_mul_f32_e32 v72, v72, v96                                // 0000000087CC: 0A90C148
	v_mul_f32_e32 v73, v73, v97                                // 0000000087D0: 0A92C349
	v_mul_f32_e32 v74, v74, v98                                // 0000000087D4: 0A94C54A
	v_mul_f32_e32 v75, v75, v99                                // 0000000087D8: 0A96C74B
	v_pk_mul_f32 v[4:5], v[76:77], v[76:77]                    // 0000000087DC: D3B14004 1802994C
	v_pk_mul_f32 v[6:7], v[78:79], v[78:79]                    // 0000000087E4: D3B14006 18029D4E
	v_pk_fma_f32 v[4:5], v[4:5], s[78:79], v[8:9]              // 0000000087EC: D3B04004 1C209D04
	v_pk_fma_f32 v[6:7], v[6:7], s[78:79], v[8:9]              // 0000000087F4: D3B04006 1C209D06
	v_pk_mul_f32 v[4:5], v[4:5], v[76:77]                      // 0000000087FC: D3B14004 18029904
	v_pk_mul_f32 v[6:7], v[6:7], v[78:79]                      // 000000008804: D3B14006 18029D06
	v_pk_mul_f32 v[4:5], v[4:5], s[60:61]                      // 00000000880C: D3B14004 18007904
	v_pk_mul_f32 v[6:7], v[6:7], s[60:61]                      // 000000008814: D3B14006 18007906
	v_exp_f32_e32 v4, v4                                       // 00000000881C: 7E084104
	v_exp_f32_e32 v5, v5                                       // 000000008820: 7E0A4105
	v_exp_f32_e32 v6, v6                                       // 000000008824: 7E0C4106
	v_exp_f32_e32 v7, v7                                       // 000000008828: 7E0E4107
	v_add_f32_e64 v4, v4, 1.0                                  // 00000000882C: D1010004 0001E504
	v_add_f32_e64 v5, v5, 1.0                                  // 000000008834: D1010005 0001E505
	v_add_f32_e64 v6, v6, 1.0                                  // 00000000883C: D1010006 0001E506
	v_add_f32_e64 v7, v7, 1.0                                  // 000000008844: D1010007 0001E507
	v_rcp_f32_e32 v4, v4                                       // 00000000884C: 7E084504
	v_rcp_f32_e32 v5, v5                                       // 000000008850: 7E0A4505
	v_rcp_f32_e32 v6, v6                                       // 000000008854: 7E0C4506
	v_rcp_f32_e32 v7, v7                                       // 000000008858: 7E0E4507
	v_mul_f32_e32 v76, v76, v4                                 // 00000000885C: 0A98094C
	v_mul_f32_e32 v77, v77, v5                                 // 000000008860: 0A9A0B4D
	v_mul_f32_e32 v78, v78, v6                                 // 000000008864: 0A9C0D4E
	v_mul_f32_e32 v79, v79, v7                                 // 000000008868: 0A9E0F4F
	v_mul_f32_e32 v76, v76, v100                               // 00000000886C: 0A98C94C
	v_mul_f32_e32 v77, v77, v101                               // 000000008870: 0A9ACB4D
	v_mul_f32_e32 v78, v78, v102                               // 000000008874: 0A9CCD4E
	v_mul_f32_e32 v79, v79, v103                               // 000000008878: 0A9ECF4F
	v_pk_mul_f32 v[4:5], v[80:81], v[80:81]                    // 00000000887C: D3B14004 1802A150
	v_pk_mul_f32 v[6:7], v[82:83], v[82:83]                    // 000000008884: D3B14006 1802A552
	v_pk_fma_f32 v[4:5], v[4:5], s[78:79], v[8:9]              // 00000000888C: D3B04004 1C209D04
	v_pk_fma_f32 v[6:7], v[6:7], s[78:79], v[8:9]              // 000000008894: D3B04006 1C209D06
	v_pk_mul_f32 v[4:5], v[4:5], v[80:81]                      // 00000000889C: D3B14004 1802A104
	v_pk_mul_f32 v[6:7], v[6:7], v[82:83]                      // 0000000088A4: D3B14006 1802A506
	v_pk_mul_f32 v[4:5], v[4:5], s[60:61]                      // 0000000088AC: D3B14004 18007904
	v_pk_mul_f32 v[6:7], v[6:7], s[60:61]                      // 0000000088B4: D3B14006 18007906
	v_exp_f32_e32 v4, v4                                       // 0000000088BC: 7E084104
	v_exp_f32_e32 v5, v5                                       // 0000000088C0: 7E0A4105
	v_exp_f32_e32 v6, v6                                       // 0000000088C4: 7E0C4106
	v_exp_f32_e32 v7, v7                                       // 0000000088C8: 7E0E4107
	v_add_f32_e64 v4, v4, 1.0                                  // 0000000088CC: D1010004 0001E504
	v_add_f32_e64 v5, v5, 1.0                                  // 0000000088D4: D1010005 0001E505
	v_add_f32_e64 v6, v6, 1.0                                  // 0000000088DC: D1010006 0001E506
	v_add_f32_e64 v7, v7, 1.0                                  // 0000000088E4: D1010007 0001E507
	v_rcp_f32_e32 v4, v4                                       // 0000000088EC: 7E084504
	v_rcp_f32_e32 v5, v5                                       // 0000000088F0: 7E0A4505
	v_rcp_f32_e32 v6, v6                                       // 0000000088F4: 7E0C4506
	v_rcp_f32_e32 v7, v7                                       // 0000000088F8: 7E0E4507
	v_mul_f32_e32 v80, v80, v4                                 // 0000000088FC: 0AA00950
	v_mul_f32_e32 v81, v81, v5                                 // 000000008900: 0AA20B51
	v_mul_f32_e32 v82, v82, v6                                 // 000000008904: 0AA40D52
	v_mul_f32_e32 v83, v83, v7                                 // 000000008908: 0AA60F53
	v_mul_f32_e32 v80, v80, v104                               // 00000000890C: 0AA0D150
	v_mul_f32_e32 v81, v81, v105                               // 000000008910: 0AA2D351
	v_mul_f32_e32 v82, v82, v106                               // 000000008914: 0AA4D552
	v_mul_f32_e32 v83, v83, v107                               // 000000008918: 0AA6D753
	v_pk_mul_f32 v[4:5], v[84:85], v[84:85]                    // 00000000891C: D3B14004 1802A954
	v_pk_mul_f32 v[6:7], v[86:87], v[86:87]                    // 000000008924: D3B14006 1802AD56
	v_pk_fma_f32 v[4:5], v[4:5], s[78:79], v[8:9]              // 00000000892C: D3B04004 1C209D04
	v_pk_fma_f32 v[6:7], v[6:7], s[78:79], v[8:9]              // 000000008934: D3B04006 1C209D06
	v_pk_mul_f32 v[4:5], v[4:5], v[84:85]                      // 00000000893C: D3B14004 1802A904
	v_pk_mul_f32 v[6:7], v[6:7], v[86:87]                      // 000000008944: D3B14006 1802AD06
	v_pk_mul_f32 v[4:5], v[4:5], s[60:61]                      // 00000000894C: D3B14004 18007904
	v_pk_mul_f32 v[6:7], v[6:7], s[60:61]                      // 000000008954: D3B14006 18007906
	v_exp_f32_e32 v4, v4                                       // 00000000895C: 7E084104
	v_exp_f32_e32 v5, v5                                       // 000000008960: 7E0A4105
	v_exp_f32_e32 v6, v6                                       // 000000008964: 7E0C4106
	v_exp_f32_e32 v7, v7                                       // 000000008968: 7E0E4107
	v_add_f32_e64 v4, v4, 1.0                                  // 00000000896C: D1010004 0001E504
	v_add_f32_e64 v5, v5, 1.0                                  // 000000008974: D1010005 0001E505
	v_add_f32_e64 v6, v6, 1.0                                  // 00000000897C: D1010006 0001E506
	v_add_f32_e64 v7, v7, 1.0                                  // 000000008984: D1010007 0001E507
	v_rcp_f32_e32 v4, v4                                       // 00000000898C: 7E084504
	v_rcp_f32_e32 v5, v5                                       // 000000008990: 7E0A4505
	v_rcp_f32_e32 v6, v6                                       // 000000008994: 7E0C4506
	v_rcp_f32_e32 v7, v7                                       // 000000008998: 7E0E4507
	v_mul_f32_e32 v84, v84, v4                                 // 00000000899C: 0AA80954
	v_mul_f32_e32 v85, v85, v5                                 // 0000000089A0: 0AAA0B55
	v_mul_f32_e32 v86, v86, v6                                 // 0000000089A4: 0AAC0D56
	v_mul_f32_e32 v87, v87, v7                                 // 0000000089A8: 0AAE0F57
	v_mul_f32_e32 v84, v84, v108                               // 0000000089AC: 0AA8D954
	v_mul_f32_e32 v85, v85, v109                               // 0000000089B0: 0AAADB55
	v_mul_f32_e32 v86, v86, v110                               // 0000000089B4: 0AACDD56
	v_mul_f32_e32 v87, v87, v111                               // 0000000089B8: 0AAEDF57
	v_pk_mul_f32 v[4:5], v[88:89], v[88:89]                    // 0000000089BC: D3B14004 1802B158
	v_pk_mul_f32 v[6:7], v[90:91], v[90:91]                    // 0000000089C4: D3B14006 1802B55A
	v_pk_fma_f32 v[4:5], v[4:5], s[78:79], v[8:9]              // 0000000089CC: D3B04004 1C209D04
	v_pk_fma_f32 v[6:7], v[6:7], s[78:79], v[8:9]              // 0000000089D4: D3B04006 1C209D06
	v_pk_mul_f32 v[4:5], v[4:5], v[88:89]                      // 0000000089DC: D3B14004 1802B104
	v_pk_mul_f32 v[6:7], v[6:7], v[90:91]                      // 0000000089E4: D3B14006 1802B506
	v_pk_mul_f32 v[4:5], v[4:5], s[60:61]                      // 0000000089EC: D3B14004 18007904
	v_pk_mul_f32 v[6:7], v[6:7], s[60:61]                      // 0000000089F4: D3B14006 18007906
	v_exp_f32_e32 v4, v4                                       // 0000000089FC: 7E084104
	v_exp_f32_e32 v5, v5                                       // 000000008A00: 7E0A4105
	v_exp_f32_e32 v6, v6                                       // 000000008A04: 7E0C4106
	v_exp_f32_e32 v7, v7                                       // 000000008A08: 7E0E4107
	v_add_f32_e64 v4, v4, 1.0                                  // 000000008A0C: D1010004 0001E504
	v_add_f32_e64 v5, v5, 1.0                                  // 000000008A14: D1010005 0001E505
	v_add_f32_e64 v6, v6, 1.0                                  // 000000008A1C: D1010006 0001E506
	v_add_f32_e64 v7, v7, 1.0                                  // 000000008A24: D1010007 0001E507
	v_rcp_f32_e32 v4, v4                                       // 000000008A2C: 7E084504
	v_rcp_f32_e32 v5, v5                                       // 000000008A30: 7E0A4505
	v_rcp_f32_e32 v6, v6                                       // 000000008A34: 7E0C4506
	v_rcp_f32_e32 v7, v7                                       // 000000008A38: 7E0E4507
	v_mul_f32_e32 v88, v88, v4                                 // 000000008A3C: 0AB00958
	v_mul_f32_e32 v89, v89, v5                                 // 000000008A40: 0AB20B59
	v_mul_f32_e32 v90, v90, v6                                 // 000000008A44: 0AB40D5A
	v_mul_f32_e32 v91, v91, v7                                 // 000000008A48: 0AB60F5B
	v_mul_f32_e32 v88, v88, v112                               // 000000008A4C: 0AB0E158
	v_mul_f32_e32 v89, v89, v113                               // 000000008A50: 0AB2E359
	v_mul_f32_e32 v90, v90, v114                               // 000000008A54: 0AB4E55A
	v_mul_f32_e32 v91, v91, v115                               // 000000008A58: 0AB6E75B
	s_branch label_18DB                                        // 000000008A5C: BF8200C0

0000000000008a60 <label_181B>:
	v_mul_f32_e64 v4, -v68, s6                                 // 000000008A60: D1050004 20000D44
	v_mul_f32_e64 v5, -v69, s6                                 // 000000008A68: D1050005 20000D45
	v_mul_f32_e64 v6, -v70, s6                                 // 000000008A70: D1050006 20000D46
	v_mul_f32_e64 v7, -v71, s6                                 // 000000008A78: D1050007 20000D47
	v_exp_f32_e32 v4, v4                                       // 000000008A80: 7E084104
	v_exp_f32_e32 v5, v5                                       // 000000008A84: 7E0A4105
	v_exp_f32_e32 v6, v6                                       // 000000008A88: 7E0C4106
	v_exp_f32_e32 v7, v7                                       // 000000008A8C: 7E0E4107
	v_add_f32_e64 v4, v4, 1.0                                  // 000000008A90: D1010004 0001E504
	v_add_f32_e64 v5, v5, 1.0                                  // 000000008A98: D1010005 0001E505
	v_add_f32_e64 v6, v6, 1.0                                  // 000000008AA0: D1010006 0001E506
	v_add_f32_e64 v7, v7, 1.0                                  // 000000008AA8: D1010007 0001E507
	v_rcp_f32_e32 v4, v4                                       // 000000008AB0: 7E084504
	v_rcp_f32_e32 v5, v5                                       // 000000008AB4: 7E0A4505
	v_rcp_f32_e32 v6, v6                                       // 000000008AB8: 7E0C4506
	v_rcp_f32_e32 v7, v7                                       // 000000008ABC: 7E0E4507
	v_mul_f32_e32 v68, v68, v4                                 // 000000008AC0: 0A880944
	v_mul_f32_e32 v69, v69, v5                                 // 000000008AC4: 0A8A0B45
	v_mul_f32_e32 v70, v70, v6                                 // 000000008AC8: 0A8C0D46
	v_mul_f32_e32 v71, v71, v7                                 // 000000008ACC: 0A8E0F47
	v_mul_f32_e32 v68, v68, v92                                // 000000008AD0: 0A88B944
	v_mul_f32_e32 v69, v69, v93                                // 000000008AD4: 0A8ABB45
	v_mul_f32_e32 v70, v70, v94                                // 000000008AD8: 0A8CBD46
	v_mul_f32_e32 v71, v71, v95                                // 000000008ADC: 0A8EBF47
	v_mul_f32_e64 v4, -v72, s6                                 // 000000008AE0: D1050004 20000D48
	v_mul_f32_e64 v5, -v73, s6                                 // 000000008AE8: D1050005 20000D49
	v_mul_f32_e64 v6, -v74, s6                                 // 000000008AF0: D1050006 20000D4A
	v_mul_f32_e64 v7, -v75, s6                                 // 000000008AF8: D1050007 20000D4B
	v_exp_f32_e32 v4, v4                                       // 000000008B00: 7E084104
	v_exp_f32_e32 v5, v5                                       // 000000008B04: 7E0A4105
	v_exp_f32_e32 v6, v6                                       // 000000008B08: 7E0C4106
	v_exp_f32_e32 v7, v7                                       // 000000008B0C: 7E0E4107
	v_add_f32_e64 v4, v4, 1.0                                  // 000000008B10: D1010004 0001E504
	v_add_f32_e64 v5, v5, 1.0                                  // 000000008B18: D1010005 0001E505
	v_add_f32_e64 v6, v6, 1.0                                  // 000000008B20: D1010006 0001E506
	v_add_f32_e64 v7, v7, 1.0                                  // 000000008B28: D1010007 0001E507
	v_rcp_f32_e32 v4, v4                                       // 000000008B30: 7E084504
	v_rcp_f32_e32 v5, v5                                       // 000000008B34: 7E0A4505
	v_rcp_f32_e32 v6, v6                                       // 000000008B38: 7E0C4506
	v_rcp_f32_e32 v7, v7                                       // 000000008B3C: 7E0E4507
	v_mul_f32_e32 v72, v72, v4                                 // 000000008B40: 0A900948
	v_mul_f32_e32 v73, v73, v5                                 // 000000008B44: 0A920B49
	v_mul_f32_e32 v74, v74, v6                                 // 000000008B48: 0A940D4A
	v_mul_f32_e32 v75, v75, v7                                 // 000000008B4C: 0A960F4B
	v_mul_f32_e32 v72, v72, v96                                // 000000008B50: 0A90C148
	v_mul_f32_e32 v73, v73, v97                                // 000000008B54: 0A92C349
	v_mul_f32_e32 v74, v74, v98                                // 000000008B58: 0A94C54A
	v_mul_f32_e32 v75, v75, v99                                // 000000008B5C: 0A96C74B
	v_mul_f32_e64 v4, -v76, s6                                 // 000000008B60: D1050004 20000D4C
	v_mul_f32_e64 v5, -v77, s6                                 // 000000008B68: D1050005 20000D4D
	v_mul_f32_e64 v6, -v78, s6                                 // 000000008B70: D1050006 20000D4E
	v_mul_f32_e64 v7, -v79, s6                                 // 000000008B78: D1050007 20000D4F
	v_exp_f32_e32 v4, v4                                       // 000000008B80: 7E084104
	v_exp_f32_e32 v5, v5                                       // 000000008B84: 7E0A4105
	v_exp_f32_e32 v6, v6                                       // 000000008B88: 7E0C4106
	v_exp_f32_e32 v7, v7                                       // 000000008B8C: 7E0E4107
	v_add_f32_e64 v4, v4, 1.0                                  // 000000008B90: D1010004 0001E504
	v_add_f32_e64 v5, v5, 1.0                                  // 000000008B98: D1010005 0001E505
	v_add_f32_e64 v6, v6, 1.0                                  // 000000008BA0: D1010006 0001E506
	v_add_f32_e64 v7, v7, 1.0                                  // 000000008BA8: D1010007 0001E507
	v_rcp_f32_e32 v4, v4                                       // 000000008BB0: 7E084504
	v_rcp_f32_e32 v5, v5                                       // 000000008BB4: 7E0A4505
	v_rcp_f32_e32 v6, v6                                       // 000000008BB8: 7E0C4506
	v_rcp_f32_e32 v7, v7                                       // 000000008BBC: 7E0E4507
	v_mul_f32_e32 v76, v76, v4                                 // 000000008BC0: 0A98094C
	v_mul_f32_e32 v77, v77, v5                                 // 000000008BC4: 0A9A0B4D
	v_mul_f32_e32 v78, v78, v6                                 // 000000008BC8: 0A9C0D4E
	v_mul_f32_e32 v79, v79, v7                                 // 000000008BCC: 0A9E0F4F
	v_mul_f32_e32 v76, v76, v100                               // 000000008BD0: 0A98C94C
	v_mul_f32_e32 v77, v77, v101                               // 000000008BD4: 0A9ACB4D
	v_mul_f32_e32 v78, v78, v102                               // 000000008BD8: 0A9CCD4E
	v_mul_f32_e32 v79, v79, v103                               // 000000008BDC: 0A9ECF4F
	v_mul_f32_e64 v4, -v80, s6                                 // 000000008BE0: D1050004 20000D50
	v_mul_f32_e64 v5, -v81, s6                                 // 000000008BE8: D1050005 20000D51
	v_mul_f32_e64 v6, -v82, s6                                 // 000000008BF0: D1050006 20000D52
	v_mul_f32_e64 v7, -v83, s6                                 // 000000008BF8: D1050007 20000D53
	v_exp_f32_e32 v4, v4                                       // 000000008C00: 7E084104
	v_exp_f32_e32 v5, v5                                       // 000000008C04: 7E0A4105
	v_exp_f32_e32 v6, v6                                       // 000000008C08: 7E0C4106
	v_exp_f32_e32 v7, v7                                       // 000000008C0C: 7E0E4107
	v_add_f32_e64 v4, v4, 1.0                                  // 000000008C10: D1010004 0001E504
	v_add_f32_e64 v5, v5, 1.0                                  // 000000008C18: D1010005 0001E505
	v_add_f32_e64 v6, v6, 1.0                                  // 000000008C20: D1010006 0001E506
	v_add_f32_e64 v7, v7, 1.0                                  // 000000008C28: D1010007 0001E507
	v_rcp_f32_e32 v4, v4                                       // 000000008C30: 7E084504
	v_rcp_f32_e32 v5, v5                                       // 000000008C34: 7E0A4505
	v_rcp_f32_e32 v6, v6                                       // 000000008C38: 7E0C4506
	v_rcp_f32_e32 v7, v7                                       // 000000008C3C: 7E0E4507
	v_mul_f32_e32 v80, v80, v4                                 // 000000008C40: 0AA00950
	v_mul_f32_e32 v81, v81, v5                                 // 000000008C44: 0AA20B51
	v_mul_f32_e32 v82, v82, v6                                 // 000000008C48: 0AA40D52
	v_mul_f32_e32 v83, v83, v7                                 // 000000008C4C: 0AA60F53
	v_mul_f32_e32 v80, v80, v104                               // 000000008C50: 0AA0D150
	v_mul_f32_e32 v81, v81, v105                               // 000000008C54: 0AA2D351
	v_mul_f32_e32 v82, v82, v106                               // 000000008C58: 0AA4D552
	v_mul_f32_e32 v83, v83, v107                               // 000000008C5C: 0AA6D753
	v_mul_f32_e64 v4, -v84, s6                                 // 000000008C60: D1050004 20000D54
	v_mul_f32_e64 v5, -v85, s6                                 // 000000008C68: D1050005 20000D55
	v_mul_f32_e64 v6, -v86, s6                                 // 000000008C70: D1050006 20000D56
	v_mul_f32_e64 v7, -v87, s6                                 // 000000008C78: D1050007 20000D57
	v_exp_f32_e32 v4, v4                                       // 000000008C80: 7E084104
	v_exp_f32_e32 v5, v5                                       // 000000008C84: 7E0A4105
	v_exp_f32_e32 v6, v6                                       // 000000008C88: 7E0C4106
	v_exp_f32_e32 v7, v7                                       // 000000008C8C: 7E0E4107
	v_add_f32_e64 v4, v4, 1.0                                  // 000000008C90: D1010004 0001E504
	v_add_f32_e64 v5, v5, 1.0                                  // 000000008C98: D1010005 0001E505
	v_add_f32_e64 v6, v6, 1.0                                  // 000000008CA0: D1010006 0001E506
	v_add_f32_e64 v7, v7, 1.0                                  // 000000008CA8: D1010007 0001E507
	v_rcp_f32_e32 v4, v4                                       // 000000008CB0: 7E084504
	v_rcp_f32_e32 v5, v5                                       // 000000008CB4: 7E0A4505
	v_rcp_f32_e32 v6, v6                                       // 000000008CB8: 7E0C4506
	v_rcp_f32_e32 v7, v7                                       // 000000008CBC: 7E0E4507
	v_mul_f32_e32 v84, v84, v4                                 // 000000008CC0: 0AA80954
	v_mul_f32_e32 v85, v85, v5                                 // 000000008CC4: 0AAA0B55
	v_mul_f32_e32 v86, v86, v6                                 // 000000008CC8: 0AAC0D56
	v_mul_f32_e32 v87, v87, v7                                 // 000000008CCC: 0AAE0F57
	v_mul_f32_e32 v84, v84, v108                               // 000000008CD0: 0AA8D954
	v_mul_f32_e32 v85, v85, v109                               // 000000008CD4: 0AAADB55
	v_mul_f32_e32 v86, v86, v110                               // 000000008CD8: 0AACDD56
	v_mul_f32_e32 v87, v87, v111                               // 000000008CDC: 0AAEDF57
	v_mul_f32_e64 v4, -v88, s6                                 // 000000008CE0: D1050004 20000D58
	v_mul_f32_e64 v5, -v89, s6                                 // 000000008CE8: D1050005 20000D59
	v_mul_f32_e64 v6, -v90, s6                                 // 000000008CF0: D1050006 20000D5A
	v_mul_f32_e64 v7, -v91, s6                                 // 000000008CF8: D1050007 20000D5B
	v_exp_f32_e32 v4, v4                                       // 000000008D00: 7E084104
	v_exp_f32_e32 v5, v5                                       // 000000008D04: 7E0A4105
	v_exp_f32_e32 v6, v6                                       // 000000008D08: 7E0C4106
	v_exp_f32_e32 v7, v7                                       // 000000008D0C: 7E0E4107
	v_add_f32_e64 v4, v4, 1.0                                  // 000000008D10: D1010004 0001E504
	v_add_f32_e64 v5, v5, 1.0                                  // 000000008D18: D1010005 0001E505
	v_add_f32_e64 v6, v6, 1.0                                  // 000000008D20: D1010006 0001E506
	v_add_f32_e64 v7, v7, 1.0                                  // 000000008D28: D1010007 0001E507
	v_rcp_f32_e32 v4, v4                                       // 000000008D30: 7E084504
	v_rcp_f32_e32 v5, v5                                       // 000000008D34: 7E0A4505
	v_rcp_f32_e32 v6, v6                                       // 000000008D38: 7E0C4506
	v_rcp_f32_e32 v7, v7                                       // 000000008D3C: 7E0E4507
	v_mul_f32_e32 v88, v88, v4                                 // 000000008D40: 0AB00958
	v_mul_f32_e32 v89, v89, v5                                 // 000000008D44: 0AB20B59
	v_mul_f32_e32 v90, v90, v6                                 // 000000008D48: 0AB40D5A
	v_mul_f32_e32 v91, v91, v7                                 // 000000008D4C: 0AB60F5B
	v_mul_f32_e32 v88, v88, v112                               // 000000008D50: 0AB0E158
	v_mul_f32_e32 v89, v89, v113                               // 000000008D54: 0AB2E359
	v_mul_f32_e32 v90, v90, v114                               // 000000008D58: 0AB4E55A
	v_mul_f32_e32 v91, v91, v115                               // 000000008D5C: 0AB6E75B

0000000000008d60 <label_18DB>:
	v_cmp_u_f32_e64 s[46:47], v68, v68                         // 000000008D60: D048002E 00028944
	v_add3_u32 v16, v68, v19, 1                                // 000000008D68: D1FF0010 02062744
	v_cndmask_b32_e64 v4, v16, v18, s[46:47]                   // 000000008D70: D1000004 00BA2510
	v_cmp_u_f32_e64 s[46:47], v69, v69                         // 000000008D78: D048002E 00028B45
	v_add3_u32 v16, v69, v19, 1                                // 000000008D80: D1FF0010 02062745
	v_cndmask_b32_e64 v5, v16, v18, s[46:47]                   // 000000008D88: D1000005 00BA2510
	v_perm_b32 v68, v5, v4, s52                                // 000000008D90: D1ED0044 00D20905
	v_cmp_u_f32_e64 s[46:47], v70, v70                         // 000000008D98: D048002E 00028D46
	v_add3_u32 v16, v70, v19, 1                                // 000000008DA0: D1FF0010 02062746
	v_cndmask_b32_e64 v4, v16, v18, s[46:47]                   // 000000008DA8: D1000004 00BA2510
	v_cmp_u_f32_e64 s[46:47], v71, v71                         // 000000008DB0: D048002E 00028F47
	v_add3_u32 v16, v71, v19, 1                                // 000000008DB8: D1FF0010 02062747
	v_cndmask_b32_e64 v5, v16, v18, s[46:47]                   // 000000008DC0: D1000005 00BA2510
	v_perm_b32 v69, v5, v4, s52                                // 000000008DC8: D1ED0045 00D20905
	v_cmp_u_f32_e64 s[46:47], v72, v72                         // 000000008DD0: D048002E 00029148
	v_add3_u32 v16, v72, v19, 1                                // 000000008DD8: D1FF0010 02062748
	v_cndmask_b32_e64 v4, v16, v18, s[46:47]                   // 000000008DE0: D1000004 00BA2510
	v_cmp_u_f32_e64 s[46:47], v73, v73                         // 000000008DE8: D048002E 00029349
	v_add3_u32 v16, v73, v19, 1                                // 000000008DF0: D1FF0010 02062749
	v_cndmask_b32_e64 v5, v16, v18, s[46:47]                   // 000000008DF8: D1000005 00BA2510
	v_perm_b32 v70, v5, v4, s52                                // 000000008E00: D1ED0046 00D20905
	v_cmp_u_f32_e64 s[46:47], v74, v74                         // 000000008E08: D048002E 0002954A
	v_add3_u32 v16, v74, v19, 1                                // 000000008E10: D1FF0010 0206274A
	v_cndmask_b32_e64 v4, v16, v18, s[46:47]                   // 000000008E18: D1000004 00BA2510
	v_cmp_u_f32_e64 s[46:47], v75, v75                         // 000000008E20: D048002E 0002974B
	v_add3_u32 v16, v75, v19, 1                                // 000000008E28: D1FF0010 0206274B
	v_cndmask_b32_e64 v5, v16, v18, s[46:47]                   // 000000008E30: D1000005 00BA2510
	v_perm_b32 v71, v5, v4, s52                                // 000000008E38: D1ED0047 00D20905
	v_cmp_u_f32_e64 s[46:47], v76, v76                         // 000000008E40: D048002E 0002994C
	v_add3_u32 v16, v76, v19, 1                                // 000000008E48: D1FF0010 0206274C
	v_cndmask_b32_e64 v4, v16, v18, s[46:47]                   // 000000008E50: D1000004 00BA2510
	v_cmp_u_f32_e64 s[46:47], v77, v77                         // 000000008E58: D048002E 00029B4D
	v_add3_u32 v16, v77, v19, 1                                // 000000008E60: D1FF0010 0206274D
	v_cndmask_b32_e64 v5, v16, v18, s[46:47]                   // 000000008E68: D1000005 00BA2510
	v_perm_b32 v72, v5, v4, s52                                // 000000008E70: D1ED0048 00D20905
	v_cmp_u_f32_e64 s[46:47], v78, v78                         // 000000008E78: D048002E 00029D4E
	v_add3_u32 v16, v78, v19, 1                                // 000000008E80: D1FF0010 0206274E
	v_cndmask_b32_e64 v4, v16, v18, s[46:47]                   // 000000008E88: D1000004 00BA2510
	v_cmp_u_f32_e64 s[46:47], v79, v79                         // 000000008E90: D048002E 00029F4F
	v_add3_u32 v16, v79, v19, 1                                // 000000008E98: D1FF0010 0206274F
	v_cndmask_b32_e64 v5, v16, v18, s[46:47]                   // 000000008EA0: D1000005 00BA2510
	v_perm_b32 v73, v5, v4, s52                                // 000000008EA8: D1ED0049 00D20905
	v_cmp_u_f32_e64 s[46:47], v80, v80                         // 000000008EB0: D048002E 0002A150
	v_add3_u32 v16, v80, v19, 1                                // 000000008EB8: D1FF0010 02062750
	v_cndmask_b32_e64 v4, v16, v18, s[46:47]                   // 000000008EC0: D1000004 00BA2510
	v_cmp_u_f32_e64 s[46:47], v81, v81                         // 000000008EC8: D048002E 0002A351
	v_add3_u32 v16, v81, v19, 1                                // 000000008ED0: D1FF0010 02062751
	v_cndmask_b32_e64 v5, v16, v18, s[46:47]                   // 000000008ED8: D1000005 00BA2510
	v_perm_b32 v74, v5, v4, s52                                // 000000008EE0: D1ED004A 00D20905
	v_cmp_u_f32_e64 s[46:47], v82, v82                         // 000000008EE8: D048002E 0002A552
	v_add3_u32 v16, v82, v19, 1                                // 000000008EF0: D1FF0010 02062752
	v_cndmask_b32_e64 v4, v16, v18, s[46:47]                   // 000000008EF8: D1000004 00BA2510
	v_cmp_u_f32_e64 s[46:47], v83, v83                         // 000000008F00: D048002E 0002A753
	v_add3_u32 v16, v83, v19, 1                                // 000000008F08: D1FF0010 02062753
	v_cndmask_b32_e64 v5, v16, v18, s[46:47]                   // 000000008F10: D1000005 00BA2510
	v_perm_b32 v75, v5, v4, s52                                // 000000008F18: D1ED004B 00D20905
	v_cmp_u_f32_e64 s[46:47], v84, v84                         // 000000008F20: D048002E 0002A954
	v_add3_u32 v16, v84, v19, 1                                // 000000008F28: D1FF0010 02062754
	v_cndmask_b32_e64 v4, v16, v18, s[46:47]                   // 000000008F30: D1000004 00BA2510
	v_cmp_u_f32_e64 s[46:47], v85, v85                         // 000000008F38: D048002E 0002AB55
	v_add3_u32 v16, v85, v19, 1                                // 000000008F40: D1FF0010 02062755
	v_cndmask_b32_e64 v5, v16, v18, s[46:47]                   // 000000008F48: D1000005 00BA2510
	v_perm_b32 v76, v5, v4, s52                                // 000000008F50: D1ED004C 00D20905
	v_cmp_u_f32_e64 s[46:47], v86, v86                         // 000000008F58: D048002E 0002AD56
	v_add3_u32 v16, v86, v19, 1                                // 000000008F60: D1FF0010 02062756
	v_cndmask_b32_e64 v4, v16, v18, s[46:47]                   // 000000008F68: D1000004 00BA2510
	v_cmp_u_f32_e64 s[46:47], v87, v87                         // 000000008F70: D048002E 0002AF57
	v_add3_u32 v16, v87, v19, 1                                // 000000008F78: D1FF0010 02062757
	v_cndmask_b32_e64 v5, v16, v18, s[46:47]                   // 000000008F80: D1000005 00BA2510
	v_perm_b32 v77, v5, v4, s52                                // 000000008F88: D1ED004D 00D20905
	v_cmp_u_f32_e64 s[46:47], v88, v88                         // 000000008F90: D048002E 0002B158
	v_add3_u32 v16, v88, v19, 1                                // 000000008F98: D1FF0010 02062758
	v_cndmask_b32_e64 v4, v16, v18, s[46:47]                   // 000000008FA0: D1000004 00BA2510
	v_cmp_u_f32_e64 s[46:47], v89, v89                         // 000000008FA8: D048002E 0002B359
	v_add3_u32 v16, v89, v19, 1                                // 000000008FB0: D1FF0010 02062759
	v_cndmask_b32_e64 v5, v16, v18, s[46:47]                   // 000000008FB8: D1000005 00BA2510
	v_perm_b32 v78, v5, v4, s52                                // 000000008FC0: D1ED004E 00D20905
	v_cmp_u_f32_e64 s[46:47], v90, v90                         // 000000008FC8: D048002E 0002B55A
	v_add3_u32 v16, v90, v19, 1                                // 000000008FD0: D1FF0010 0206275A
	v_cndmask_b32_e64 v4, v16, v18, s[46:47]                   // 000000008FD8: D1000004 00BA2510
	v_cmp_u_f32_e64 s[46:47], v91, v91                         // 000000008FE0: D048002E 0002B75B
	v_add3_u32 v16, v91, v19, 1                                // 000000008FE8: D1FF0010 0206275B
	v_cndmask_b32_e64 v5, v16, v18, s[46:47]                   // 000000008FF0: D1000005 00BA2510
	v_perm_b32 v79, v5, v4, s52                                // 000000008FF8: D1ED004F 00D20905
	ds_write_b64 v20, v[68:69]                                 // 000000009000: D89A0000 00004414
	ds_write_b64 v20, v[70:71] offset:2176                     // 000000009008: D89A0880 00004614
	ds_write_b64 v20, v[72:73] offset:4352                     // 000000009010: D89A1100 00004814
	ds_write_b64 v20, v[74:75] offset:6528                     // 000000009018: D89A1980 00004A14
	ds_write_b64 v20, v[76:77] offset:8704                     // 000000009020: D89A2200 00004C14
	ds_write_b64 v20, v[78:79] offset:10880                    // 000000009028: D89A2A80 00004E14
	v_lshrrev_b32_e32 v4, 5, v0                                // 000000009030: 20080085
	v_xor_b32_e32 v5, 1, v4                                    // 000000009034: 2A0A0881
	s_mul_i32 s60, s65, 2                                      // 000000009038: 923C8241
	s_cmp_eq_u32 s88, 0                                        // 00000000903C: BF068058
	s_cselect_b32 s61, 1, 4                                    // 000000009040: 853D8481
	s_mul_i32 s60, s61, s60                                    // 000000009044: 923C3C3D
	v_readlane_b32 s82, v3, 0                                  // 000000009048: D2890052 00010103
	s_lshr_b32 s61, s82, 24                                    // 000000009050: 8F3D9852
	s_and_b32 s82, s82, 0xffffff                               // 000000009054: 8652FF52 00FFFFFF
	s_mul_i32 s82, s82, s71                                    // 00000000905C: 92524752
	s_mul_i32 s61, s60, s61                                    // 000000009060: 923D3D3C
	s_add_u32 s82, s82, s61                                    // 000000009064: 80523D52
	v_mul_lo_u32 v6, v5, s82                                   // 000000009068: D2850006 0000A505
	v_readlane_b32 s82, v3, 1                                  // 000000009070: D2890052 00010303
	s_lshr_b32 s61, s82, 24                                    // 000000009078: 8F3D9852
	s_and_b32 s82, s82, 0xffffff                               // 00000000907C: 8652FF52 00FFFFFF
	s_mul_i32 s82, s82, s71                                    // 000000009084: 92524752
	s_mul_i32 s61, s60, s61                                    // 000000009088: 923D3D3C
	s_add_u32 s82, s82, s61                                    // 00000000908C: 80523D52
	v_mul_lo_u32 v7, v4, s82                                   // 000000009090: D2850007 0000A504
	v_add_u32_e32 v54, v6, v7                                  // 000000009098: 686C0F06
	v_readlane_b32 s82, v3, 2                                  // 00000000909C: D2890052 00010503
	s_lshr_b32 s61, s82, 24                                    // 0000000090A4: 8F3D9852
	s_and_b32 s82, s82, 0xffffff                               // 0000000090A8: 8652FF52 00FFFFFF
	s_mul_i32 s82, s82, s71                                    // 0000000090B0: 92524752
	s_mul_i32 s61, s60, s61                                    // 0000000090B4: 923D3D3C
	s_add_u32 s82, s82, s61                                    // 0000000090B8: 80523D52
	v_mul_lo_u32 v6, v5, s82                                   // 0000000090BC: D2850006 0000A505
	v_readlane_b32 s82, v3, 3                                  // 0000000090C4: D2890052 00010703
	s_lshr_b32 s61, s82, 24                                    // 0000000090CC: 8F3D9852
	s_and_b32 s82, s82, 0xffffff                               // 0000000090D0: 8652FF52 00FFFFFF
	s_mul_i32 s82, s82, s71                                    // 0000000090D8: 92524752
	s_mul_i32 s61, s60, s61                                    // 0000000090DC: 923D3D3C
	s_add_u32 s82, s82, s61                                    // 0000000090E0: 80523D52
	v_mul_lo_u32 v7, v4, s82                                   // 0000000090E4: D2850007 0000A504
	v_add_u32_e32 v55, v6, v7                                  // 0000000090EC: 686E0F06
	v_readlane_b32 s82, v3, 4                                  // 0000000090F0: D2890052 00010903
	s_lshr_b32 s61, s82, 24                                    // 0000000090F8: 8F3D9852
	s_and_b32 s82, s82, 0xffffff                               // 0000000090FC: 8652FF52 00FFFFFF
	s_mul_i32 s82, s82, s71                                    // 000000009104: 92524752
	s_mul_i32 s61, s60, s61                                    // 000000009108: 923D3D3C
	s_add_u32 s82, s82, s61                                    // 00000000910C: 80523D52
	v_mul_lo_u32 v6, v5, s82                                   // 000000009110: D2850006 0000A505
	v_readlane_b32 s82, v3, 5                                  // 000000009118: D2890052 00010B03
	s_lshr_b32 s61, s82, 24                                    // 000000009120: 8F3D9852
	s_and_b32 s82, s82, 0xffffff                               // 000000009124: 8652FF52 00FFFFFF
	s_mul_i32 s82, s82, s71                                    // 00000000912C: 92524752
	s_mul_i32 s61, s60, s61                                    // 000000009130: 923D3D3C
	s_add_u32 s82, s82, s61                                    // 000000009134: 80523D52
	v_mul_lo_u32 v7, v4, s82                                   // 000000009138: D2850007 0000A504
	v_add_u32_e32 v56, v6, v7                                  // 000000009140: 68700F06
	v_readlane_b32 s82, v3, 6                                  // 000000009144: D2890052 00010D03
	s_lshr_b32 s61, s82, 24                                    // 00000000914C: 8F3D9852
	s_and_b32 s82, s82, 0xffffff                               // 000000009150: 8652FF52 00FFFFFF
	s_mul_i32 s82, s82, s71                                    // 000000009158: 92524752
	s_mul_i32 s61, s60, s61                                    // 00000000915C: 923D3D3C
	s_add_u32 s82, s82, s61                                    // 000000009160: 80523D52
	v_mul_lo_u32 v6, v5, s82                                   // 000000009164: D2850006 0000A505
	v_readlane_b32 s82, v3, 7                                  // 00000000916C: D2890052 00010F03
	s_lshr_b32 s61, s82, 24                                    // 000000009174: 8F3D9852
	s_and_b32 s82, s82, 0xffffff                               // 000000009178: 8652FF52 00FFFFFF
	s_mul_i32 s82, s82, s71                                    // 000000009180: 92524752
	s_mul_i32 s61, s60, s61                                    // 000000009184: 923D3D3C
	s_add_u32 s82, s82, s61                                    // 000000009188: 80523D52
	v_mul_lo_u32 v7, v4, s82                                   // 00000000918C: D2850007 0000A504
	v_add_u32_e32 v57, v6, v7                                  // 000000009194: 68720F06
	v_readlane_b32 s82, v3, 8                                  // 000000009198: D2890052 00011103
	s_lshr_b32 s61, s82, 24                                    // 0000000091A0: 8F3D9852
	s_and_b32 s82, s82, 0xffffff                               // 0000000091A4: 8652FF52 00FFFFFF
	s_mul_i32 s82, s82, s71                                    // 0000000091AC: 92524752
	s_mul_i32 s61, s60, s61                                    // 0000000091B0: 923D3D3C
	s_add_u32 s82, s82, s61                                    // 0000000091B4: 80523D52
	v_mul_lo_u32 v6, v5, s82                                   // 0000000091B8: D2850006 0000A505
	v_readlane_b32 s82, v3, 9                                  // 0000000091C0: D2890052 00011303
	s_lshr_b32 s61, s82, 24                                    // 0000000091C8: 8F3D9852
	s_and_b32 s82, s82, 0xffffff                               // 0000000091CC: 8652FF52 00FFFFFF
	s_mul_i32 s82, s82, s71                                    // 0000000091D4: 92524752
	s_mul_i32 s61, s60, s61                                    // 0000000091D8: 923D3D3C
	s_add_u32 s82, s82, s61                                    // 0000000091DC: 80523D52
	v_mul_lo_u32 v7, v4, s82                                   // 0000000091E0: D2850007 0000A504
	v_add_u32_e32 v58, v6, v7                                  // 0000000091E8: 68740F06
	v_readlane_b32 s82, v3, 10                                 // 0000000091EC: D2890052 00011503
	s_lshr_b32 s61, s82, 24                                    // 0000000091F4: 8F3D9852
	s_and_b32 s82, s82, 0xffffff                               // 0000000091F8: 8652FF52 00FFFFFF
	s_mul_i32 s82, s82, s71                                    // 000000009200: 92524752
	s_mul_i32 s61, s60, s61                                    // 000000009204: 923D3D3C
	s_add_u32 s82, s82, s61                                    // 000000009208: 80523D52
	v_mul_lo_u32 v6, v5, s82                                   // 00000000920C: D2850006 0000A505
	v_readlane_b32 s82, v3, 11                                 // 000000009214: D2890052 00011703
	s_lshr_b32 s61, s82, 24                                    // 00000000921C: 8F3D9852
	s_and_b32 s82, s82, 0xffffff                               // 000000009220: 8652FF52 00FFFFFF
	s_mul_i32 s82, s82, s71                                    // 000000009228: 92524752
	s_mul_i32 s61, s60, s61                                    // 00000000922C: 923D3D3C
	s_add_u32 s82, s82, s61                                    // 000000009230: 80523D52
	v_mul_lo_u32 v7, v4, s82                                   // 000000009234: D2850007 0000A504
	v_add_u32_e32 v59, v6, v7                                  // 00000000923C: 68760F06
	v_readlane_b32 s82, v3, 12                                 // 000000009240: D2890052 00011903
	s_lshr_b32 s61, s82, 24                                    // 000000009248: 8F3D9852
	s_and_b32 s82, s82, 0xffffff                               // 00000000924C: 8652FF52 00FFFFFF
	s_mul_i32 s82, s82, s71                                    // 000000009254: 92524752
	s_mul_i32 s61, s60, s61                                    // 000000009258: 923D3D3C
	s_add_u32 s82, s82, s61                                    // 00000000925C: 80523D52
	v_mul_lo_u32 v6, v5, s82                                   // 000000009260: D2850006 0000A505
	v_readlane_b32 s82, v3, 13                                 // 000000009268: D2890052 00011B03
	s_lshr_b32 s61, s82, 24                                    // 000000009270: 8F3D9852
	s_and_b32 s82, s82, 0xffffff                               // 000000009274: 8652FF52 00FFFFFF
	s_mul_i32 s82, s82, s71                                    // 00000000927C: 92524752
	s_mul_i32 s61, s60, s61                                    // 000000009280: 923D3D3C
	s_add_u32 s82, s82, s61                                    // 000000009284: 80523D52
	v_mul_lo_u32 v7, v4, s82                                   // 000000009288: D2850007 0000A504
	v_add_u32_e32 v60, v6, v7                                  // 000000009290: 68780F06
	v_readlane_b32 s82, v3, 14                                 // 000000009294: D2890052 00011D03
	s_lshr_b32 s61, s82, 24                                    // 00000000929C: 8F3D9852
	s_and_b32 s82, s82, 0xffffff                               // 0000000092A0: 8652FF52 00FFFFFF
	s_mul_i32 s82, s82, s71                                    // 0000000092A8: 92524752
	s_mul_i32 s61, s60, s61                                    // 0000000092AC: 923D3D3C
	s_add_u32 s82, s82, s61                                    // 0000000092B0: 80523D52
	v_mul_lo_u32 v6, v5, s82                                   // 0000000092B4: D2850006 0000A505
	v_readlane_b32 s82, v3, 15                                 // 0000000092BC: D2890052 00011F03
	s_lshr_b32 s61, s82, 24                                    // 0000000092C4: 8F3D9852
	s_and_b32 s82, s82, 0xffffff                               // 0000000092C8: 8652FF52 00FFFFFF
	s_mul_i32 s82, s82, s71                                    // 0000000092D0: 92524752
	s_mul_i32 s61, s60, s61                                    // 0000000092D4: 923D3D3C
	s_add_u32 s82, s82, s61                                    // 0000000092D8: 80523D52
	v_mul_lo_u32 v7, v4, s82                                   // 0000000092DC: D2850007 0000A504
	v_add_u32_e32 v61, v6, v7                                  // 0000000092E4: 687A0F06
	v_readlane_b32 s82, v3, 16                                 // 0000000092E8: D2890052 00012103
	s_lshr_b32 s61, s82, 24                                    // 0000000092F0: 8F3D9852
	s_and_b32 s82, s82, 0xffffff                               // 0000000092F4: 8652FF52 00FFFFFF
	s_mul_i32 s82, s82, s71                                    // 0000000092FC: 92524752
	s_mul_i32 s61, s60, s61                                    // 000000009300: 923D3D3C
	s_add_u32 s82, s82, s61                                    // 000000009304: 80523D52
	v_mul_lo_u32 v6, v5, s82                                   // 000000009308: D2850006 0000A505
	v_readlane_b32 s82, v3, 17                                 // 000000009310: D2890052 00012303
	s_lshr_b32 s61, s82, 24                                    // 000000009318: 8F3D9852
	s_and_b32 s82, s82, 0xffffff                               // 00000000931C: 8652FF52 00FFFFFF
	s_mul_i32 s82, s82, s71                                    // 000000009324: 92524752
	s_mul_i32 s61, s60, s61                                    // 000000009328: 923D3D3C
	s_add_u32 s82, s82, s61                                    // 00000000932C: 80523D52
	v_mul_lo_u32 v7, v4, s82                                   // 000000009330: D2850007 0000A504
	v_add_u32_e32 v62, v6, v7                                  // 000000009338: 687C0F06
	v_readlane_b32 s82, v3, 18                                 // 00000000933C: D2890052 00012503
	s_lshr_b32 s61, s82, 24                                    // 000000009344: 8F3D9852
	s_and_b32 s82, s82, 0xffffff                               // 000000009348: 8652FF52 00FFFFFF
	s_mul_i32 s82, s82, s71                                    // 000000009350: 92524752
	s_mul_i32 s61, s60, s61                                    // 000000009354: 923D3D3C
	s_add_u32 s82, s82, s61                                    // 000000009358: 80523D52
	v_mul_lo_u32 v6, v5, s82                                   // 00000000935C: D2850006 0000A505
	v_readlane_b32 s82, v3, 19                                 // 000000009364: D2890052 00012703
	s_lshr_b32 s61, s82, 24                                    // 00000000936C: 8F3D9852
	s_and_b32 s82, s82, 0xffffff                               // 000000009370: 8652FF52 00FFFFFF
	s_mul_i32 s82, s82, s71                                    // 000000009378: 92524752
	s_mul_i32 s61, s60, s61                                    // 00000000937C: 923D3D3C
	s_add_u32 s82, s82, s61                                    // 000000009380: 80523D52
	v_mul_lo_u32 v7, v4, s82                                   // 000000009384: D2850007 0000A504
	v_add_u32_e32 v63, v6, v7                                  // 00000000938C: 687E0F06
	v_readlane_b32 s82, v3, 20                                 // 000000009390: D2890052 00012903
	s_lshr_b32 s61, s82, 24                                    // 000000009398: 8F3D9852
	s_and_b32 s82, s82, 0xffffff                               // 00000000939C: 8652FF52 00FFFFFF
	s_mul_i32 s82, s82, s71                                    // 0000000093A4: 92524752
	s_mul_i32 s61, s60, s61                                    // 0000000093A8: 923D3D3C
	s_add_u32 s82, s82, s61                                    // 0000000093AC: 80523D52
	v_mul_lo_u32 v6, v5, s82                                   // 0000000093B0: D2850006 0000A505
	v_readlane_b32 s82, v3, 21                                 // 0000000093B8: D2890052 00012B03
	s_lshr_b32 s61, s82, 24                                    // 0000000093C0: 8F3D9852
	s_and_b32 s82, s82, 0xffffff                               // 0000000093C4: 8652FF52 00FFFFFF
	s_mul_i32 s82, s82, s71                                    // 0000000093CC: 92524752
	s_mul_i32 s61, s60, s61                                    // 0000000093D0: 923D3D3C
	s_add_u32 s82, s82, s61                                    // 0000000093D4: 80523D52
	v_mul_lo_u32 v7, v4, s82                                   // 0000000093D8: D2850007 0000A504
	v_add_u32_e32 v64, v6, v7                                  // 0000000093E0: 68800F06
	v_readlane_b32 s82, v3, 22                                 // 0000000093E4: D2890052 00012D03
	s_lshr_b32 s61, s82, 24                                    // 0000000093EC: 8F3D9852
	s_and_b32 s82, s82, 0xffffff                               // 0000000093F0: 8652FF52 00FFFFFF
	s_mul_i32 s82, s82, s71                                    // 0000000093F8: 92524752
	s_mul_i32 s61, s60, s61                                    // 0000000093FC: 923D3D3C
	s_add_u32 s82, s82, s61                                    // 000000009400: 80523D52
	v_mul_lo_u32 v6, v5, s82                                   // 000000009404: D2850006 0000A505
	v_readlane_b32 s82, v3, 23                                 // 00000000940C: D2890052 00012F03
	s_lshr_b32 s61, s82, 24                                    // 000000009414: 8F3D9852
	s_and_b32 s82, s82, 0xffffff                               // 000000009418: 8652FF52 00FFFFFF
	s_mul_i32 s82, s82, s71                                    // 000000009420: 92524752
	s_mul_i32 s61, s60, s61                                    // 000000009424: 923D3D3C
	s_add_u32 s82, s82, s61                                    // 000000009428: 80523D52
	v_mul_lo_u32 v7, v4, s82                                   // 00000000942C: D2850007 0000A504
	v_add_u32_e32 v65, v6, v7                                  // 000000009434: 68820F06
	v_and_b32_e32 v4, 31, v0                                   // 000000009438: 2608009F
	v_lshrrev_b32_e32 v4, 1, v4                                // 00000000943C: 20080881
	s_cmp_eq_u32 s88, 0                                        // 000000009440: BF068058
	s_cselect_b32 s61, 2, 4                                    // 000000009444: 853D8482
	v_mul_lo_u32 v4, v4, s61                                   // 000000009448: D2850004 00007B04
	v_and_b32_e64 v5, v0, 1                                    // 000000009450: D1130005 00010300
	v_add_u32_e32 v4, v4, v5                                   // 000000009458: 68080B04
	v_lshlrev_b32_e32 v4, 2, v4                                // 00000000945C: 24080882
	v_add_u32_e32 v54, v54, v4                                 // 000000009460: 686C0936
	v_add_u32_e32 v55, v55, v4                                 // 000000009464: 686E0937
	v_add_u32_e32 v56, v56, v4                                 // 000000009468: 68700938
	v_add_u32_e32 v57, v57, v4                                 // 00000000946C: 68720939
	v_add_u32_e32 v58, v58, v4                                 // 000000009470: 6874093A
	v_add_u32_e32 v59, v59, v4                                 // 000000009474: 6876093B
	v_add_u32_e32 v60, v60, v4                                 // 000000009478: 6878093C
	v_add_u32_e32 v61, v61, v4                                 // 00000000947C: 687A093D
	v_add_u32_e32 v62, v62, v4                                 // 000000009480: 687C093E
	v_add_u32_e32 v63, v63, v4                                 // 000000009484: 687E093F
	v_add_u32_e32 v64, v64, v4                                 // 000000009488: 68800940
	v_add_u32_e32 v65, v65, v4                                 // 00000000948C: 68820941
	s_waitcnt lgkmcnt(0)                                       // 000000009490: BF8CC07F
	s_barrier                                                  // 000000009494: BF8A0000
	ds_read_b32 v68, v21                                       // 000000009498: D86C0000 44000015
	ds_read_b32 v69, v21 offset:64                             // 0000000094A0: D86C0040 45000015
	ds_read_b32 v70, v21 offset:2176                           // 0000000094A8: D86C0880 46000015
	ds_read_b32 v71, v21 offset:2240                           // 0000000094B0: D86C08C0 47000015
	ds_read_b32 v72, v21 offset:4352                           // 0000000094B8: D86C1100 48000015
	ds_read_b32 v73, v21 offset:4416                           // 0000000094C0: D86C1140 49000015
	ds_read_b32 v74, v21 offset:6528                           // 0000000094C8: D86C1980 4A000015
	ds_read_b32 v75, v21 offset:6592                           // 0000000094D0: D86C19C0 4B000015
	ds_read_b32 v76, v21 offset:8704                           // 0000000094D8: D86C2200 4C000015
	ds_read_b32 v77, v21 offset:8768                           // 0000000094E0: D86C2240 4D000015
	ds_read_b32 v78, v21 offset:10880                          // 0000000094E8: D86C2A80 4E000015
	ds_read_b32 v79, v21 offset:10944                          // 0000000094F0: D86C2AC0 4F000015
	s_waitcnt lgkmcnt(0)                                       // 0000000094F8: BF8CC07F
	s_mov_b32 s36, -1                                          // 0000000094FC: BEA400C1
	s_mov_b32 s37, -1                                          // 000000009500: BEA500C1
	v_mov_b32_e32 v7, 0                                        // 000000009504: 7E0E0280
	s_or_b32 s9, s9, 0x40000                                   // 000000009508: 8709FF09 00040000
	s_mov_b64 exec, s[36:37]                                   // 000000009510: BEFE0124
	v_mov_b32_e32 v6, v54                                      // 000000009514: 7E0C0336
	s_mov_b64 s[60:61], 0                                      // 000000009518: BEBC0180
	v_readlane_b32 s82, v3, 0                                  // 00000000951C: D2890052 00010103
	s_and_b32 s82, s82, 0xffffff                               // 000000009524: 8652FF52 00FFFFFF
	s_cmp_lt_u32 s82, s66                                      // 00000000952C: BF0A4252
	s_cselect_b32 s20, s36, s60                                // 000000009530: 85143C24
	v_readlane_b32 s82, v3, 1                                  // 000000009534: D2890052 00010303
	s_and_b32 s82, s82, 0xffffff                               // 00000000953C: 8652FF52 00FFFFFF
	s_cmp_lt_u32 s82, s66                                      // 000000009544: BF0A4252
	s_cselect_b32 s21, s36, s60                                // 000000009548: 85153C24
	s_mov_b64 exec, s[20:21]                                   // 00000000954C: BEFE0114
	buffer_store_dword v68, v6, s[8:11], 0 offen               // 000000009550: E0701000 80024406
	s_mov_b64 exec, s[36:37]                                   // 000000009558: BEFE0124
	v_mov_b32_e32 v6, v55                                      // 00000000955C: 7E0C0337
	s_mov_b64 s[60:61], 0                                      // 000000009560: BEBC0180
	v_readlane_b32 s82, v3, 2                                  // 000000009564: D2890052 00010503
	s_and_b32 s82, s82, 0xffffff                               // 00000000956C: 8652FF52 00FFFFFF
	s_cmp_lt_u32 s82, s66                                      // 000000009574: BF0A4252
	s_cselect_b32 s20, s36, s60                                // 000000009578: 85143C24
	v_readlane_b32 s82, v3, 3                                  // 00000000957C: D2890052 00010703
	s_and_b32 s82, s82, 0xffffff                               // 000000009584: 8652FF52 00FFFFFF
	s_cmp_lt_u32 s82, s66                                      // 00000000958C: BF0A4252
	s_cselect_b32 s21, s36, s60                                // 000000009590: 85153C24
	s_mov_b64 exec, s[20:21]                                   // 000000009594: BEFE0114
	buffer_store_dword v69, v6, s[8:11], 0 offen               // 000000009598: E0701000 80024506
	s_mov_b64 exec, s[36:37]                                   // 0000000095A0: BEFE0124
	v_mov_b32_e32 v6, v56                                      // 0000000095A4: 7E0C0338
	s_mov_b64 s[60:61], 0                                      // 0000000095A8: BEBC0180
	v_readlane_b32 s82, v3, 4                                  // 0000000095AC: D2890052 00010903
	s_and_b32 s82, s82, 0xffffff                               // 0000000095B4: 8652FF52 00FFFFFF
	s_cmp_lt_u32 s82, s66                                      // 0000000095BC: BF0A4252
	s_cselect_b32 s20, s36, s60                                // 0000000095C0: 85143C24
	v_readlane_b32 s82, v3, 5                                  // 0000000095C4: D2890052 00010B03
	s_and_b32 s82, s82, 0xffffff                               // 0000000095CC: 8652FF52 00FFFFFF
	s_cmp_lt_u32 s82, s66                                      // 0000000095D4: BF0A4252
	s_cselect_b32 s21, s36, s60                                // 0000000095D8: 85153C24
	s_mov_b64 exec, s[20:21]                                   // 0000000095DC: BEFE0114
	buffer_store_dword v70, v6, s[8:11], 0 offen               // 0000000095E0: E0701000 80024606
	s_mov_b64 exec, s[36:37]                                   // 0000000095E8: BEFE0124
	v_mov_b32_e32 v6, v57                                      // 0000000095EC: 7E0C0339
	s_mov_b64 s[60:61], 0                                      // 0000000095F0: BEBC0180
	v_readlane_b32 s82, v3, 6                                  // 0000000095F4: D2890052 00010D03
	s_and_b32 s82, s82, 0xffffff                               // 0000000095FC: 8652FF52 00FFFFFF
	s_cmp_lt_u32 s82, s66                                      // 000000009604: BF0A4252
	s_cselect_b32 s20, s36, s60                                // 000000009608: 85143C24
	v_readlane_b32 s82, v3, 7                                  // 00000000960C: D2890052 00010F03
	s_and_b32 s82, s82, 0xffffff                               // 000000009614: 8652FF52 00FFFFFF
	s_cmp_lt_u32 s82, s66                                      // 00000000961C: BF0A4252
	s_cselect_b32 s21, s36, s60                                // 000000009620: 85153C24
	s_mov_b64 exec, s[20:21]                                   // 000000009624: BEFE0114
	buffer_store_dword v71, v6, s[8:11], 0 offen               // 000000009628: E0701000 80024706
	s_mov_b64 exec, s[36:37]                                   // 000000009630: BEFE0124
	v_mov_b32_e32 v6, v58                                      // 000000009634: 7E0C033A
	s_mov_b64 s[60:61], 0                                      // 000000009638: BEBC0180
	v_readlane_b32 s82, v3, 8                                  // 00000000963C: D2890052 00011103
	s_and_b32 s82, s82, 0xffffff                               // 000000009644: 8652FF52 00FFFFFF
	s_cmp_lt_u32 s82, s66                                      // 00000000964C: BF0A4252
	s_cselect_b32 s20, s36, s60                                // 000000009650: 85143C24
	v_readlane_b32 s82, v3, 9                                  // 000000009654: D2890052 00011303
	s_and_b32 s82, s82, 0xffffff                               // 00000000965C: 8652FF52 00FFFFFF
	s_cmp_lt_u32 s82, s66                                      // 000000009664: BF0A4252
	s_cselect_b32 s21, s36, s60                                // 000000009668: 85153C24
	s_mov_b64 exec, s[20:21]                                   // 00000000966C: BEFE0114
	buffer_store_dword v72, v6, s[8:11], 0 offen               // 000000009670: E0701000 80024806
	s_mov_b64 exec, s[36:37]                                   // 000000009678: BEFE0124
	v_mov_b32_e32 v6, v59                                      // 00000000967C: 7E0C033B
	s_mov_b64 s[60:61], 0                                      // 000000009680: BEBC0180
	v_readlane_b32 s82, v3, 10                                 // 000000009684: D2890052 00011503
	s_and_b32 s82, s82, 0xffffff                               // 00000000968C: 8652FF52 00FFFFFF
	s_cmp_lt_u32 s82, s66                                      // 000000009694: BF0A4252
	s_cselect_b32 s20, s36, s60                                // 000000009698: 85143C24
	v_readlane_b32 s82, v3, 11                                 // 00000000969C: D2890052 00011703
	s_and_b32 s82, s82, 0xffffff                               // 0000000096A4: 8652FF52 00FFFFFF
	s_cmp_lt_u32 s82, s66                                      // 0000000096AC: BF0A4252
	s_cselect_b32 s21, s36, s60                                // 0000000096B0: 85153C24
	s_mov_b64 exec, s[20:21]                                   // 0000000096B4: BEFE0114
	buffer_store_dword v73, v6, s[8:11], 0 offen               // 0000000096B8: E0701000 80024906
	s_mov_b64 exec, s[36:37]                                   // 0000000096C0: BEFE0124
	v_mov_b32_e32 v6, v60                                      // 0000000096C4: 7E0C033C
	s_mov_b64 s[60:61], 0                                      // 0000000096C8: BEBC0180
	v_readlane_b32 s82, v3, 12                                 // 0000000096CC: D2890052 00011903
	s_and_b32 s82, s82, 0xffffff                               // 0000000096D4: 8652FF52 00FFFFFF
	s_cmp_lt_u32 s82, s66                                      // 0000000096DC: BF0A4252
	s_cselect_b32 s20, s36, s60                                // 0000000096E0: 85143C24
	v_readlane_b32 s82, v3, 13                                 // 0000000096E4: D2890052 00011B03
	s_and_b32 s82, s82, 0xffffff                               // 0000000096EC: 8652FF52 00FFFFFF
	s_cmp_lt_u32 s82, s66                                      // 0000000096F4: BF0A4252
	s_cselect_b32 s21, s36, s60                                // 0000000096F8: 85153C24
	s_mov_b64 exec, s[20:21]                                   // 0000000096FC: BEFE0114
	buffer_store_dword v74, v6, s[8:11], 0 offen               // 000000009700: E0701000 80024A06
	s_mov_b64 exec, s[36:37]                                   // 000000009708: BEFE0124
	v_mov_b32_e32 v6, v61                                      // 00000000970C: 7E0C033D
	s_mov_b64 s[60:61], 0                                      // 000000009710: BEBC0180
	v_readlane_b32 s82, v3, 14                                 // 000000009714: D2890052 00011D03
	s_and_b32 s82, s82, 0xffffff                               // 00000000971C: 8652FF52 00FFFFFF
	s_cmp_lt_u32 s82, s66                                      // 000000009724: BF0A4252
	s_cselect_b32 s20, s36, s60                                // 000000009728: 85143C24
	v_readlane_b32 s82, v3, 15                                 // 00000000972C: D2890052 00011F03
	s_and_b32 s82, s82, 0xffffff                               // 000000009734: 8652FF52 00FFFFFF
	s_cmp_lt_u32 s82, s66                                      // 00000000973C: BF0A4252
	s_cselect_b32 s21, s36, s60                                // 000000009740: 85153C24
	s_mov_b64 exec, s[20:21]                                   // 000000009744: BEFE0114
	buffer_store_dword v75, v6, s[8:11], 0 offen               // 000000009748: E0701000 80024B06
	s_mov_b64 exec, s[36:37]                                   // 000000009750: BEFE0124
	v_mov_b32_e32 v6, v62                                      // 000000009754: 7E0C033E
	s_mov_b64 s[60:61], 0                                      // 000000009758: BEBC0180
	v_readlane_b32 s82, v3, 16                                 // 00000000975C: D2890052 00012103
	s_and_b32 s82, s82, 0xffffff                               // 000000009764: 8652FF52 00FFFFFF
	s_cmp_lt_u32 s82, s66                                      // 00000000976C: BF0A4252
	s_cselect_b32 s20, s36, s60                                // 000000009770: 85143C24
	v_readlane_b32 s82, v3, 17                                 // 000000009774: D2890052 00012303
	s_and_b32 s82, s82, 0xffffff                               // 00000000977C: 8652FF52 00FFFFFF
	s_cmp_lt_u32 s82, s66                                      // 000000009784: BF0A4252
	s_cselect_b32 s21, s36, s60                                // 000000009788: 85153C24
	s_mov_b64 exec, s[20:21]                                   // 00000000978C: BEFE0114
	buffer_store_dword v76, v6, s[8:11], 0 offen               // 000000009790: E0701000 80024C06
	s_mov_b64 exec, s[36:37]                                   // 000000009798: BEFE0124
	v_mov_b32_e32 v6, v63                                      // 00000000979C: 7E0C033F
	s_mov_b64 s[60:61], 0                                      // 0000000097A0: BEBC0180
	v_readlane_b32 s82, v3, 18                                 // 0000000097A4: D2890052 00012503
	s_and_b32 s82, s82, 0xffffff                               // 0000000097AC: 8652FF52 00FFFFFF
	s_cmp_lt_u32 s82, s66                                      // 0000000097B4: BF0A4252
	s_cselect_b32 s20, s36, s60                                // 0000000097B8: 85143C24
	v_readlane_b32 s82, v3, 19                                 // 0000000097BC: D2890052 00012703
	s_and_b32 s82, s82, 0xffffff                               // 0000000097C4: 8652FF52 00FFFFFF
	s_cmp_lt_u32 s82, s66                                      // 0000000097CC: BF0A4252
	s_cselect_b32 s21, s36, s60                                // 0000000097D0: 85153C24
	s_mov_b64 exec, s[20:21]                                   // 0000000097D4: BEFE0114
	buffer_store_dword v77, v6, s[8:11], 0 offen               // 0000000097D8: E0701000 80024D06
	s_mov_b64 exec, s[36:37]                                   // 0000000097E0: BEFE0124
	v_mov_b32_e32 v6, v64                                      // 0000000097E4: 7E0C0340
	s_mov_b64 s[60:61], 0                                      // 0000000097E8: BEBC0180
	v_readlane_b32 s82, v3, 20                                 // 0000000097EC: D2890052 00012903
	s_and_b32 s82, s82, 0xffffff                               // 0000000097F4: 8652FF52 00FFFFFF
	s_cmp_lt_u32 s82, s66                                      // 0000000097FC: BF0A4252
	s_cselect_b32 s20, s36, s60                                // 000000009800: 85143C24
	v_readlane_b32 s82, v3, 21                                 // 000000009804: D2890052 00012B03
	s_and_b32 s82, s82, 0xffffff                               // 00000000980C: 8652FF52 00FFFFFF
	s_cmp_lt_u32 s82, s66                                      // 000000009814: BF0A4252
	s_cselect_b32 s21, s36, s60                                // 000000009818: 85153C24
	s_mov_b64 exec, s[20:21]                                   // 00000000981C: BEFE0114
	buffer_store_dword v78, v6, s[8:11], 0 offen               // 000000009820: E0701000 80024E06
	s_mov_b64 exec, s[36:37]                                   // 000000009828: BEFE0124
	v_mov_b32_e32 v6, v65                                      // 00000000982C: 7E0C0341
	s_mov_b64 s[60:61], 0                                      // 000000009830: BEBC0180
	v_readlane_b32 s82, v3, 22                                 // 000000009834: D2890052 00012D03
	s_and_b32 s82, s82, 0xffffff                               // 00000000983C: 8652FF52 00FFFFFF
	s_cmp_lt_u32 s82, s66                                      // 000000009844: BF0A4252
	s_cselect_b32 s20, s36, s60                                // 000000009848: 85143C24
	v_readlane_b32 s82, v3, 23                                 // 00000000984C: D2890052 00012F03
	s_and_b32 s82, s82, 0xffffff                               // 000000009854: 8652FF52 00FFFFFF
	s_cmp_lt_u32 s82, s66                                      // 00000000985C: BF0A4252
	s_cselect_b32 s21, s36, s60                                // 000000009860: 85153C24
	s_mov_b64 exec, s[20:21]                                   // 000000009864: BEFE0114
	buffer_store_dword v79, v6, s[8:11], 0 offen               // 000000009868: E0701000 80024F06
	s_mov_b64 exec, s[36:37]                                   // 000000009870: BEFE0124
	s_branch label_20C3                                        // 000000009874: BF820522

0000000000009878 <label_1BA1>:
	ds_write_b64 v20, v[68:69]                                 // 000000009878: D89A0000 00004414
	ds_write_b64 v20, v[72:73] offset:2176                     // 000000009880: D89A0880 00004814
	ds_write_b64 v20, v[76:77] offset:4352                     // 000000009888: D89A1100 00004C14
	ds_write_b64 v20, v[80:81] offset:6528                     // 000000009890: D89A1980 00005014
	ds_write_b64 v20, v[84:85] offset:8704                     // 000000009898: D89A2200 00005414
	ds_write_b64 v20, v[88:89] offset:10880                    // 0000000098A0: D89A2A80 00005814
	v_lshrrev_b32_e32 v4, 5, v0                                // 0000000098A8: 20080085
	v_xor_b32_e32 v5, 1, v4                                    // 0000000098AC: 2A0A0881
	s_mul_i32 s60, s65, 2                                      // 0000000098B0: 923C8241
	s_cmp_eq_u32 s88, 0                                        // 0000000098B4: BF068058
	s_cselect_b32 s61, 1, 4                                    // 0000000098B8: 853D8481
	s_mul_i32 s60, s61, s60                                    // 0000000098BC: 923C3C3D
	v_readlane_b32 s82, v3, 0                                  // 0000000098C0: D2890052 00010103
	s_lshr_b32 s61, s82, 24                                    // 0000000098C8: 8F3D9852
	s_and_b32 s82, s82, 0xffffff                               // 0000000098CC: 8652FF52 00FFFFFF
	s_mul_i32 s82, s82, s71                                    // 0000000098D4: 92524752
	s_mul_i32 s61, s60, s61                                    // 0000000098D8: 923D3D3C
	s_add_u32 s82, s82, s61                                    // 0000000098DC: 80523D52
	v_mul_lo_u32 v6, v5, s82                                   // 0000000098E0: D2850006 0000A505
	v_readlane_b32 s82, v3, 1                                  // 0000000098E8: D2890052 00010303
	s_lshr_b32 s61, s82, 24                                    // 0000000098F0: 8F3D9852
	s_and_b32 s82, s82, 0xffffff                               // 0000000098F4: 8652FF52 00FFFFFF
	s_mul_i32 s82, s82, s71                                    // 0000000098FC: 92524752
	s_mul_i32 s61, s60, s61                                    // 000000009900: 923D3D3C
	s_add_u32 s82, s82, s61                                    // 000000009904: 80523D52
	v_mul_lo_u32 v7, v4, s82                                   // 000000009908: D2850007 0000A504
	v_add_u32_e32 v54, v6, v7                                  // 000000009910: 686C0F06
	v_readlane_b32 s82, v3, 2                                  // 000000009914: D2890052 00010503
	s_lshr_b32 s61, s82, 24                                    // 00000000991C: 8F3D9852
	s_and_b32 s82, s82, 0xffffff                               // 000000009920: 8652FF52 00FFFFFF
	s_mul_i32 s82, s82, s71                                    // 000000009928: 92524752
	s_mul_i32 s61, s60, s61                                    // 00000000992C: 923D3D3C
	s_add_u32 s82, s82, s61                                    // 000000009930: 80523D52
	v_mul_lo_u32 v6, v5, s82                                   // 000000009934: D2850006 0000A505
	v_readlane_b32 s82, v3, 3                                  // 00000000993C: D2890052 00010703
	s_lshr_b32 s61, s82, 24                                    // 000000009944: 8F3D9852
	s_and_b32 s82, s82, 0xffffff                               // 000000009948: 8652FF52 00FFFFFF
	s_mul_i32 s82, s82, s71                                    // 000000009950: 92524752
	s_mul_i32 s61, s60, s61                                    // 000000009954: 923D3D3C
	s_add_u32 s82, s82, s61                                    // 000000009958: 80523D52
	v_mul_lo_u32 v7, v4, s82                                   // 00000000995C: D2850007 0000A504
	v_add_u32_e32 v55, v6, v7                                  // 000000009964: 686E0F06
	v_readlane_b32 s82, v3, 4                                  // 000000009968: D2890052 00010903
	s_lshr_b32 s61, s82, 24                                    // 000000009970: 8F3D9852
	s_and_b32 s82, s82, 0xffffff                               // 000000009974: 8652FF52 00FFFFFF
	s_mul_i32 s82, s82, s71                                    // 00000000997C: 92524752
	s_mul_i32 s61, s60, s61                                    // 000000009980: 923D3D3C
	s_add_u32 s82, s82, s61                                    // 000000009984: 80523D52
	v_mul_lo_u32 v6, v5, s82                                   // 000000009988: D2850006 0000A505
	v_readlane_b32 s82, v3, 5                                  // 000000009990: D2890052 00010B03
	s_lshr_b32 s61, s82, 24                                    // 000000009998: 8F3D9852
	s_and_b32 s82, s82, 0xffffff                               // 00000000999C: 8652FF52 00FFFFFF
	s_mul_i32 s82, s82, s71                                    // 0000000099A4: 92524752
	s_mul_i32 s61, s60, s61                                    // 0000000099A8: 923D3D3C
	s_add_u32 s82, s82, s61                                    // 0000000099AC: 80523D52
	v_mul_lo_u32 v7, v4, s82                                   // 0000000099B0: D2850007 0000A504
	v_add_u32_e32 v56, v6, v7                                  // 0000000099B8: 68700F06
	v_readlane_b32 s82, v3, 6                                  // 0000000099BC: D2890052 00010D03
	s_lshr_b32 s61, s82, 24                                    // 0000000099C4: 8F3D9852
	s_and_b32 s82, s82, 0xffffff                               // 0000000099C8: 8652FF52 00FFFFFF
	s_mul_i32 s82, s82, s71                                    // 0000000099D0: 92524752
	s_mul_i32 s61, s60, s61                                    // 0000000099D4: 923D3D3C
	s_add_u32 s82, s82, s61                                    // 0000000099D8: 80523D52
	v_mul_lo_u32 v6, v5, s82                                   // 0000000099DC: D2850006 0000A505
	v_readlane_b32 s82, v3, 7                                  // 0000000099E4: D2890052 00010F03
	s_lshr_b32 s61, s82, 24                                    // 0000000099EC: 8F3D9852
	s_and_b32 s82, s82, 0xffffff                               // 0000000099F0: 8652FF52 00FFFFFF
	s_mul_i32 s82, s82, s71                                    // 0000000099F8: 92524752
	s_mul_i32 s61, s60, s61                                    // 0000000099FC: 923D3D3C
	s_add_u32 s82, s82, s61                                    // 000000009A00: 80523D52
	v_mul_lo_u32 v7, v4, s82                                   // 000000009A04: D2850007 0000A504
	v_add_u32_e32 v57, v6, v7                                  // 000000009A0C: 68720F06
	v_readlane_b32 s82, v3, 8                                  // 000000009A10: D2890052 00011103
	s_lshr_b32 s61, s82, 24                                    // 000000009A18: 8F3D9852
	s_and_b32 s82, s82, 0xffffff                               // 000000009A1C: 8652FF52 00FFFFFF
	s_mul_i32 s82, s82, s71                                    // 000000009A24: 92524752
	s_mul_i32 s61, s60, s61                                    // 000000009A28: 923D3D3C
	s_add_u32 s82, s82, s61                                    // 000000009A2C: 80523D52
	v_mul_lo_u32 v6, v5, s82                                   // 000000009A30: D2850006 0000A505
	v_readlane_b32 s82, v3, 9                                  // 000000009A38: D2890052 00011303
	s_lshr_b32 s61, s82, 24                                    // 000000009A40: 8F3D9852
	s_and_b32 s82, s82, 0xffffff                               // 000000009A44: 8652FF52 00FFFFFF
	s_mul_i32 s82, s82, s71                                    // 000000009A4C: 92524752
	s_mul_i32 s61, s60, s61                                    // 000000009A50: 923D3D3C
	s_add_u32 s82, s82, s61                                    // 000000009A54: 80523D52
	v_mul_lo_u32 v7, v4, s82                                   // 000000009A58: D2850007 0000A504
	v_add_u32_e32 v58, v6, v7                                  // 000000009A60: 68740F06
	v_readlane_b32 s82, v3, 10                                 // 000000009A64: D2890052 00011503
	s_lshr_b32 s61, s82, 24                                    // 000000009A6C: 8F3D9852
	s_and_b32 s82, s82, 0xffffff                               // 000000009A70: 8652FF52 00FFFFFF
	s_mul_i32 s82, s82, s71                                    // 000000009A78: 92524752
	s_mul_i32 s61, s60, s61                                    // 000000009A7C: 923D3D3C
	s_add_u32 s82, s82, s61                                    // 000000009A80: 80523D52
	v_mul_lo_u32 v6, v5, s82                                   // 000000009A84: D2850006 0000A505
	v_readlane_b32 s82, v3, 11                                 // 000000009A8C: D2890052 00011703
	s_lshr_b32 s61, s82, 24                                    // 000000009A94: 8F3D9852
	s_and_b32 s82, s82, 0xffffff                               // 000000009A98: 8652FF52 00FFFFFF
	s_mul_i32 s82, s82, s71                                    // 000000009AA0: 92524752
	s_mul_i32 s61, s60, s61                                    // 000000009AA4: 923D3D3C
	s_add_u32 s82, s82, s61                                    // 000000009AA8: 80523D52
	v_mul_lo_u32 v7, v4, s82                                   // 000000009AAC: D2850007 0000A504
	v_add_u32_e32 v59, v6, v7                                  // 000000009AB4: 68760F06
	v_readlane_b32 s82, v3, 12                                 // 000000009AB8: D2890052 00011903
	s_lshr_b32 s61, s82, 24                                    // 000000009AC0: 8F3D9852
	s_and_b32 s82, s82, 0xffffff                               // 000000009AC4: 8652FF52 00FFFFFF
	s_mul_i32 s82, s82, s71                                    // 000000009ACC: 92524752
	s_mul_i32 s61, s60, s61                                    // 000000009AD0: 923D3D3C
	s_add_u32 s82, s82, s61                                    // 000000009AD4: 80523D52
	v_mul_lo_u32 v6, v5, s82                                   // 000000009AD8: D2850006 0000A505
	v_readlane_b32 s82, v3, 13                                 // 000000009AE0: D2890052 00011B03
	s_lshr_b32 s61, s82, 24                                    // 000000009AE8: 8F3D9852
	s_and_b32 s82, s82, 0xffffff                               // 000000009AEC: 8652FF52 00FFFFFF
	s_mul_i32 s82, s82, s71                                    // 000000009AF4: 92524752
	s_mul_i32 s61, s60, s61                                    // 000000009AF8: 923D3D3C
	s_add_u32 s82, s82, s61                                    // 000000009AFC: 80523D52
	v_mul_lo_u32 v7, v4, s82                                   // 000000009B00: D2850007 0000A504
	v_add_u32_e32 v60, v6, v7                                  // 000000009B08: 68780F06
	v_readlane_b32 s82, v3, 14                                 // 000000009B0C: D2890052 00011D03
	s_lshr_b32 s61, s82, 24                                    // 000000009B14: 8F3D9852
	s_and_b32 s82, s82, 0xffffff                               // 000000009B18: 8652FF52 00FFFFFF
	s_mul_i32 s82, s82, s71                                    // 000000009B20: 92524752
	s_mul_i32 s61, s60, s61                                    // 000000009B24: 923D3D3C
	s_add_u32 s82, s82, s61                                    // 000000009B28: 80523D52
	v_mul_lo_u32 v6, v5, s82                                   // 000000009B2C: D2850006 0000A505
	v_readlane_b32 s82, v3, 15                                 // 000000009B34: D2890052 00011F03
	s_lshr_b32 s61, s82, 24                                    // 000000009B3C: 8F3D9852
	s_and_b32 s82, s82, 0xffffff                               // 000000009B40: 8652FF52 00FFFFFF
	s_mul_i32 s82, s82, s71                                    // 000000009B48: 92524752
	s_mul_i32 s61, s60, s61                                    // 000000009B4C: 923D3D3C
	s_add_u32 s82, s82, s61                                    // 000000009B50: 80523D52
	v_mul_lo_u32 v7, v4, s82                                   // 000000009B54: D2850007 0000A504
	v_add_u32_e32 v61, v6, v7                                  // 000000009B5C: 687A0F06
	v_readlane_b32 s82, v3, 16                                 // 000000009B60: D2890052 00012103
	s_lshr_b32 s61, s82, 24                                    // 000000009B68: 8F3D9852
	s_and_b32 s82, s82, 0xffffff                               // 000000009B6C: 8652FF52 00FFFFFF
	s_mul_i32 s82, s82, s71                                    // 000000009B74: 92524752
	s_mul_i32 s61, s60, s61                                    // 000000009B78: 923D3D3C
	s_add_u32 s82, s82, s61                                    // 000000009B7C: 80523D52
	v_mul_lo_u32 v6, v5, s82                                   // 000000009B80: D2850006 0000A505
	v_readlane_b32 s82, v3, 17                                 // 000000009B88: D2890052 00012303
	s_lshr_b32 s61, s82, 24                                    // 000000009B90: 8F3D9852
	s_and_b32 s82, s82, 0xffffff                               // 000000009B94: 8652FF52 00FFFFFF
	s_mul_i32 s82, s82, s71                                    // 000000009B9C: 92524752
	s_mul_i32 s61, s60, s61                                    // 000000009BA0: 923D3D3C
	s_add_u32 s82, s82, s61                                    // 000000009BA4: 80523D52
	v_mul_lo_u32 v7, v4, s82                                   // 000000009BA8: D2850007 0000A504
	v_add_u32_e32 v62, v6, v7                                  // 000000009BB0: 687C0F06
	v_readlane_b32 s82, v3, 18                                 // 000000009BB4: D2890052 00012503
	s_lshr_b32 s61, s82, 24                                    // 000000009BBC: 8F3D9852
	s_and_b32 s82, s82, 0xffffff                               // 000000009BC0: 8652FF52 00FFFFFF
	s_mul_i32 s82, s82, s71                                    // 000000009BC8: 92524752
	s_mul_i32 s61, s60, s61                                    // 000000009BCC: 923D3D3C
	s_add_u32 s82, s82, s61                                    // 000000009BD0: 80523D52
	v_mul_lo_u32 v6, v5, s82                                   // 000000009BD4: D2850006 0000A505
	v_readlane_b32 s82, v3, 19                                 // 000000009BDC: D2890052 00012703
	s_lshr_b32 s61, s82, 24                                    // 000000009BE4: 8F3D9852
	s_and_b32 s82, s82, 0xffffff                               // 000000009BE8: 8652FF52 00FFFFFF
	s_mul_i32 s82, s82, s71                                    // 000000009BF0: 92524752
	s_mul_i32 s61, s60, s61                                    // 000000009BF4: 923D3D3C
	s_add_u32 s82, s82, s61                                    // 000000009BF8: 80523D52
	v_mul_lo_u32 v7, v4, s82                                   // 000000009BFC: D2850007 0000A504
	v_add_u32_e32 v63, v6, v7                                  // 000000009C04: 687E0F06
	v_readlane_b32 s82, v3, 20                                 // 000000009C08: D2890052 00012903
	s_lshr_b32 s61, s82, 24                                    // 000000009C10: 8F3D9852
	s_and_b32 s82, s82, 0xffffff                               // 000000009C14: 8652FF52 00FFFFFF
	s_mul_i32 s82, s82, s71                                    // 000000009C1C: 92524752
	s_mul_i32 s61, s60, s61                                    // 000000009C20: 923D3D3C
	s_add_u32 s82, s82, s61                                    // 000000009C24: 80523D52
	v_mul_lo_u32 v6, v5, s82                                   // 000000009C28: D2850006 0000A505
	v_readlane_b32 s82, v3, 21                                 // 000000009C30: D2890052 00012B03
	s_lshr_b32 s61, s82, 24                                    // 000000009C38: 8F3D9852
	s_and_b32 s82, s82, 0xffffff                               // 000000009C3C: 8652FF52 00FFFFFF
	s_mul_i32 s82, s82, s71                                    // 000000009C44: 92524752
	s_mul_i32 s61, s60, s61                                    // 000000009C48: 923D3D3C
	s_add_u32 s82, s82, s61                                    // 000000009C4C: 80523D52
	v_mul_lo_u32 v7, v4, s82                                   // 000000009C50: D2850007 0000A504
	v_add_u32_e32 v64, v6, v7                                  // 000000009C58: 68800F06
	v_readlane_b32 s82, v3, 22                                 // 000000009C5C: D2890052 00012D03
	s_lshr_b32 s61, s82, 24                                    // 000000009C64: 8F3D9852
	s_and_b32 s82, s82, 0xffffff                               // 000000009C68: 8652FF52 00FFFFFF
	s_mul_i32 s82, s82, s71                                    // 000000009C70: 92524752
	s_mul_i32 s61, s60, s61                                    // 000000009C74: 923D3D3C
	s_add_u32 s82, s82, s61                                    // 000000009C78: 80523D52
	v_mul_lo_u32 v6, v5, s82                                   // 000000009C7C: D2850006 0000A505
	v_readlane_b32 s82, v3, 23                                 // 000000009C84: D2890052 00012F03
	s_lshr_b32 s61, s82, 24                                    // 000000009C8C: 8F3D9852
	s_and_b32 s82, s82, 0xffffff                               // 000000009C90: 8652FF52 00FFFFFF
	s_mul_i32 s82, s82, s71                                    // 000000009C98: 92524752
	s_mul_i32 s61, s60, s61                                    // 000000009C9C: 923D3D3C
	s_add_u32 s82, s82, s61                                    // 000000009CA0: 80523D52
	v_mul_lo_u32 v7, v4, s82                                   // 000000009CA4: D2850007 0000A504
	v_add_u32_e32 v65, v6, v7                                  // 000000009CAC: 68820F06
	v_and_b32_e32 v4, 31, v0                                   // 000000009CB0: 2608009F
	v_lshrrev_b32_e32 v4, 1, v4                                // 000000009CB4: 20080881
	s_cmp_eq_u32 s88, 0                                        // 000000009CB8: BF068058
	s_cselect_b32 s61, 2, 4                                    // 000000009CBC: 853D8482
	v_mul_lo_u32 v4, v4, s61                                   // 000000009CC0: D2850004 00007B04
	v_and_b32_e64 v5, v0, 1                                    // 000000009CC8: D1130005 00010300
	v_add_u32_e32 v4, v4, v5                                   // 000000009CD0: 68080B04
	v_lshlrev_b32_e32 v4, 2, v4                                // 000000009CD4: 24080882
	v_add_u32_e32 v54, v54, v4                                 // 000000009CD8: 686C0936
	v_add_u32_e32 v55, v55, v4                                 // 000000009CDC: 686E0937
	v_add_u32_e32 v56, v56, v4                                 // 000000009CE0: 68700938
	v_add_u32_e32 v57, v57, v4                                 // 000000009CE4: 68720939
	v_add_u32_e32 v58, v58, v4                                 // 000000009CE8: 6874093A
	v_add_u32_e32 v59, v59, v4                                 // 000000009CEC: 6876093B
	v_add_u32_e32 v60, v60, v4                                 // 000000009CF0: 6878093C
	v_add_u32_e32 v61, v61, v4                                 // 000000009CF4: 687A093D
	v_add_u32_e32 v62, v62, v4                                 // 000000009CF8: 687C093E
	v_add_u32_e32 v63, v63, v4                                 // 000000009CFC: 687E093F
	v_add_u32_e32 v64, v64, v4                                 // 000000009D00: 68800940
	v_add_u32_e32 v65, v65, v4                                 // 000000009D04: 68820941
	s_waitcnt lgkmcnt(0)                                       // 000000009D08: BF8CC07F
	s_barrier                                                  // 000000009D0C: BF8A0000
	ds_read_b32 v68, v21                                       // 000000009D10: D86C0000 44000015
	ds_read_b32 v69, v21 offset:64                             // 000000009D18: D86C0040 45000015
	ds_read_b32 v72, v21 offset:2176                           // 000000009D20: D86C0880 48000015
	ds_read_b32 v73, v21 offset:2240                           // 000000009D28: D86C08C0 49000015
	ds_read_b32 v76, v21 offset:4352                           // 000000009D30: D86C1100 4C000015
	ds_read_b32 v77, v21 offset:4416                           // 000000009D38: D86C1140 4D000015
	ds_read_b32 v80, v21 offset:6528                           // 000000009D40: D86C1980 50000015
	ds_read_b32 v81, v21 offset:6592                           // 000000009D48: D86C19C0 51000015
	ds_read_b32 v84, v21 offset:8704                           // 000000009D50: D86C2200 54000015
	ds_read_b32 v85, v21 offset:8768                           // 000000009D58: D86C2240 55000015
	ds_read_b32 v88, v21 offset:10880                          // 000000009D60: D86C2A80 58000015
	ds_read_b32 v89, v21 offset:10944                          // 000000009D68: D86C2AC0 59000015
	s_waitcnt lgkmcnt(0)                                       // 000000009D70: BF8CC07F
	s_mov_b32 s36, -1                                          // 000000009D74: BEA400C1
	s_mov_b32 s37, -1                                          // 000000009D78: BEA500C1
	v_mov_b32_e32 v7, 0                                        // 000000009D7C: 7E0E0280
	s_mov_b64 exec, s[36:37]                                   // 000000009D80: BEFE0124
	v_mov_b32_e32 v6, v54                                      // 000000009D84: 7E0C0336
	s_mov_b64 s[60:61], 0                                      // 000000009D88: BEBC0180
	v_readlane_b32 s82, v3, 0                                  // 000000009D8C: D2890052 00010103
	s_and_b32 s82, s82, 0xffffff                               // 000000009D94: 8652FF52 00FFFFFF
	s_cmp_lt_u32 s82, s66                                      // 000000009D9C: BF0A4252
	s_cselect_b32 s20, s36, s60                                // 000000009DA0: 85143C24
	v_readlane_b32 s82, v3, 1                                  // 000000009DA4: D2890052 00010303
	s_and_b32 s82, s82, 0xffffff                               // 000000009DAC: 8652FF52 00FFFFFF
	s_cmp_lt_u32 s82, s66                                      // 000000009DB4: BF0A4252
	s_cselect_b32 s21, s36, s60                                // 000000009DB8: 85153C24
	s_mov_b64 exec, s[20:21]                                   // 000000009DBC: BEFE0114
	global_atomic_add_f32 v6, v68, s[8:9]                      // 000000009DC0: DD348000 00084406
	s_mov_b64 exec, s[36:37]                                   // 000000009DC8: BEFE0124
	v_mov_b32_e32 v6, v55                                      // 000000009DCC: 7E0C0337
	s_mov_b64 s[60:61], 0                                      // 000000009DD0: BEBC0180
	v_readlane_b32 s82, v3, 2                                  // 000000009DD4: D2890052 00010503
	s_and_b32 s82, s82, 0xffffff                               // 000000009DDC: 8652FF52 00FFFFFF
	s_cmp_lt_u32 s82, s66                                      // 000000009DE4: BF0A4252
	s_cselect_b32 s20, s36, s60                                // 000000009DE8: 85143C24
	v_readlane_b32 s82, v3, 3                                  // 000000009DEC: D2890052 00010703
	s_and_b32 s82, s82, 0xffffff                               // 000000009DF4: 8652FF52 00FFFFFF
	s_cmp_lt_u32 s82, s66                                      // 000000009DFC: BF0A4252
	s_cselect_b32 s21, s36, s60                                // 000000009E00: 85153C24
	s_mov_b64 exec, s[20:21]                                   // 000000009E04: BEFE0114
	global_atomic_add_f32 v6, v69, s[8:9]                      // 000000009E08: DD348000 00084506
	s_mov_b64 exec, s[36:37]                                   // 000000009E10: BEFE0124
	v_mov_b32_e32 v6, v56                                      // 000000009E14: 7E0C0338
	s_mov_b64 s[60:61], 0                                      // 000000009E18: BEBC0180
	v_readlane_b32 s82, v3, 4                                  // 000000009E1C: D2890052 00010903
	s_and_b32 s82, s82, 0xffffff                               // 000000009E24: 8652FF52 00FFFFFF
	s_cmp_lt_u32 s82, s66                                      // 000000009E2C: BF0A4252
	s_cselect_b32 s20, s36, s60                                // 000000009E30: 85143C24
	v_readlane_b32 s82, v3, 5                                  // 000000009E34: D2890052 00010B03
	s_and_b32 s82, s82, 0xffffff                               // 000000009E3C: 8652FF52 00FFFFFF
	s_cmp_lt_u32 s82, s66                                      // 000000009E44: BF0A4252
	s_cselect_b32 s21, s36, s60                                // 000000009E48: 85153C24
	s_mov_b64 exec, s[20:21]                                   // 000000009E4C: BEFE0114
	global_atomic_add_f32 v6, v72, s[8:9]                      // 000000009E50: DD348000 00084806
	s_mov_b64 exec, s[36:37]                                   // 000000009E58: BEFE0124
	v_mov_b32_e32 v6, v57                                      // 000000009E5C: 7E0C0339
	s_mov_b64 s[60:61], 0                                      // 000000009E60: BEBC0180
	v_readlane_b32 s82, v3, 6                                  // 000000009E64: D2890052 00010D03
	s_and_b32 s82, s82, 0xffffff                               // 000000009E6C: 8652FF52 00FFFFFF
	s_cmp_lt_u32 s82, s66                                      // 000000009E74: BF0A4252
	s_cselect_b32 s20, s36, s60                                // 000000009E78: 85143C24
	v_readlane_b32 s82, v3, 7                                  // 000000009E7C: D2890052 00010F03
	s_and_b32 s82, s82, 0xffffff                               // 000000009E84: 8652FF52 00FFFFFF
	s_cmp_lt_u32 s82, s66                                      // 000000009E8C: BF0A4252
	s_cselect_b32 s21, s36, s60                                // 000000009E90: 85153C24
	s_mov_b64 exec, s[20:21]                                   // 000000009E94: BEFE0114
	global_atomic_add_f32 v6, v73, s[8:9]                      // 000000009E98: DD348000 00084906
	s_mov_b64 exec, s[36:37]                                   // 000000009EA0: BEFE0124
	v_mov_b32_e32 v6, v58                                      // 000000009EA4: 7E0C033A
	s_mov_b64 s[60:61], 0                                      // 000000009EA8: BEBC0180
	v_readlane_b32 s82, v3, 8                                  // 000000009EAC: D2890052 00011103
	s_and_b32 s82, s82, 0xffffff                               // 000000009EB4: 8652FF52 00FFFFFF
	s_cmp_lt_u32 s82, s66                                      // 000000009EBC: BF0A4252
	s_cselect_b32 s20, s36, s60                                // 000000009EC0: 85143C24
	v_readlane_b32 s82, v3, 9                                  // 000000009EC4: D2890052 00011303
	s_and_b32 s82, s82, 0xffffff                               // 000000009ECC: 8652FF52 00FFFFFF
	s_cmp_lt_u32 s82, s66                                      // 000000009ED4: BF0A4252
	s_cselect_b32 s21, s36, s60                                // 000000009ED8: 85153C24
	s_mov_b64 exec, s[20:21]                                   // 000000009EDC: BEFE0114
	global_atomic_add_f32 v6, v76, s[8:9]                      // 000000009EE0: DD348000 00084C06
	s_mov_b64 exec, s[36:37]                                   // 000000009EE8: BEFE0124
	v_mov_b32_e32 v6, v59                                      // 000000009EEC: 7E0C033B
	s_mov_b64 s[60:61], 0                                      // 000000009EF0: BEBC0180
	v_readlane_b32 s82, v3, 10                                 // 000000009EF4: D2890052 00011503
	s_and_b32 s82, s82, 0xffffff                               // 000000009EFC: 8652FF52 00FFFFFF
	s_cmp_lt_u32 s82, s66                                      // 000000009F04: BF0A4252
	s_cselect_b32 s20, s36, s60                                // 000000009F08: 85143C24
	v_readlane_b32 s82, v3, 11                                 // 000000009F0C: D2890052 00011703
	s_and_b32 s82, s82, 0xffffff                               // 000000009F14: 8652FF52 00FFFFFF
	s_cmp_lt_u32 s82, s66                                      // 000000009F1C: BF0A4252
	s_cselect_b32 s21, s36, s60                                // 000000009F20: 85153C24
	s_mov_b64 exec, s[20:21]                                   // 000000009F24: BEFE0114
	global_atomic_add_f32 v6, v77, s[8:9]                      // 000000009F28: DD348000 00084D06
	s_mov_b64 exec, s[36:37]                                   // 000000009F30: BEFE0124
	v_mov_b32_e32 v6, v60                                      // 000000009F34: 7E0C033C
	s_mov_b64 s[60:61], 0                                      // 000000009F38: BEBC0180
	v_readlane_b32 s82, v3, 12                                 // 000000009F3C: D2890052 00011903
	s_and_b32 s82, s82, 0xffffff                               // 000000009F44: 8652FF52 00FFFFFF
	s_cmp_lt_u32 s82, s66                                      // 000000009F4C: BF0A4252
	s_cselect_b32 s20, s36, s60                                // 000000009F50: 85143C24
	v_readlane_b32 s82, v3, 13                                 // 000000009F54: D2890052 00011B03
	s_and_b32 s82, s82, 0xffffff                               // 000000009F5C: 8652FF52 00FFFFFF
	s_cmp_lt_u32 s82, s66                                      // 000000009F64: BF0A4252
	s_cselect_b32 s21, s36, s60                                // 000000009F68: 85153C24
	s_mov_b64 exec, s[20:21]                                   // 000000009F6C: BEFE0114
	global_atomic_add_f32 v6, v80, s[8:9]                      // 000000009F70: DD348000 00085006
	s_mov_b64 exec, s[36:37]                                   // 000000009F78: BEFE0124
	v_mov_b32_e32 v6, v61                                      // 000000009F7C: 7E0C033D
	s_mov_b64 s[60:61], 0                                      // 000000009F80: BEBC0180
	v_readlane_b32 s82, v3, 14                                 // 000000009F84: D2890052 00011D03
	s_and_b32 s82, s82, 0xffffff                               // 000000009F8C: 8652FF52 00FFFFFF
	s_cmp_lt_u32 s82, s66                                      // 000000009F94: BF0A4252
	s_cselect_b32 s20, s36, s60                                // 000000009F98: 85143C24
	v_readlane_b32 s82, v3, 15                                 // 000000009F9C: D2890052 00011F03
	s_and_b32 s82, s82, 0xffffff                               // 000000009FA4: 8652FF52 00FFFFFF
	s_cmp_lt_u32 s82, s66                                      // 000000009FAC: BF0A4252
	s_cselect_b32 s21, s36, s60                                // 000000009FB0: 85153C24
	s_mov_b64 exec, s[20:21]                                   // 000000009FB4: BEFE0114
	global_atomic_add_f32 v6, v81, s[8:9]                      // 000000009FB8: DD348000 00085106
	s_mov_b64 exec, s[36:37]                                   // 000000009FC0: BEFE0124
	v_mov_b32_e32 v6, v62                                      // 000000009FC4: 7E0C033E
	s_mov_b64 s[60:61], 0                                      // 000000009FC8: BEBC0180
	v_readlane_b32 s82, v3, 16                                 // 000000009FCC: D2890052 00012103
	s_and_b32 s82, s82, 0xffffff                               // 000000009FD4: 8652FF52 00FFFFFF
	s_cmp_lt_u32 s82, s66                                      // 000000009FDC: BF0A4252
	s_cselect_b32 s20, s36, s60                                // 000000009FE0: 85143C24
	v_readlane_b32 s82, v3, 17                                 // 000000009FE4: D2890052 00012303
	s_and_b32 s82, s82, 0xffffff                               // 000000009FEC: 8652FF52 00FFFFFF
	s_cmp_lt_u32 s82, s66                                      // 000000009FF4: BF0A4252
	s_cselect_b32 s21, s36, s60                                // 000000009FF8: 85153C24
	s_mov_b64 exec, s[20:21]                                   // 000000009FFC: BEFE0114
	global_atomic_add_f32 v6, v84, s[8:9]                      // 00000000A000: DD348000 00085406
	s_mov_b64 exec, s[36:37]                                   // 00000000A008: BEFE0124
	v_mov_b32_e32 v6, v63                                      // 00000000A00C: 7E0C033F
	s_mov_b64 s[60:61], 0                                      // 00000000A010: BEBC0180
	v_readlane_b32 s82, v3, 18                                 // 00000000A014: D2890052 00012503
	s_and_b32 s82, s82, 0xffffff                               // 00000000A01C: 8652FF52 00FFFFFF
	s_cmp_lt_u32 s82, s66                                      // 00000000A024: BF0A4252
	s_cselect_b32 s20, s36, s60                                // 00000000A028: 85143C24
	v_readlane_b32 s82, v3, 19                                 // 00000000A02C: D2890052 00012703
	s_and_b32 s82, s82, 0xffffff                               // 00000000A034: 8652FF52 00FFFFFF
	s_cmp_lt_u32 s82, s66                                      // 00000000A03C: BF0A4252
	s_cselect_b32 s21, s36, s60                                // 00000000A040: 85153C24
	s_mov_b64 exec, s[20:21]                                   // 00000000A044: BEFE0114
	global_atomic_add_f32 v6, v85, s[8:9]                      // 00000000A048: DD348000 00085506
	s_mov_b64 exec, s[36:37]                                   // 00000000A050: BEFE0124
	v_mov_b32_e32 v6, v64                                      // 00000000A054: 7E0C0340
	s_mov_b64 s[60:61], 0                                      // 00000000A058: BEBC0180
	v_readlane_b32 s82, v3, 20                                 // 00000000A05C: D2890052 00012903
	s_and_b32 s82, s82, 0xffffff                               // 00000000A064: 8652FF52 00FFFFFF
	s_cmp_lt_u32 s82, s66                                      // 00000000A06C: BF0A4252
	s_cselect_b32 s20, s36, s60                                // 00000000A070: 85143C24
	v_readlane_b32 s82, v3, 21                                 // 00000000A074: D2890052 00012B03
	s_and_b32 s82, s82, 0xffffff                               // 00000000A07C: 8652FF52 00FFFFFF
	s_cmp_lt_u32 s82, s66                                      // 00000000A084: BF0A4252
	s_cselect_b32 s21, s36, s60                                // 00000000A088: 85153C24
	s_mov_b64 exec, s[20:21]                                   // 00000000A08C: BEFE0114
	global_atomic_add_f32 v6, v88, s[8:9]                      // 00000000A090: DD348000 00085806
	s_mov_b64 exec, s[36:37]                                   // 00000000A098: BEFE0124
	v_mov_b32_e32 v6, v65                                      // 00000000A09C: 7E0C0341
	s_mov_b64 s[60:61], 0                                      // 00000000A0A0: BEBC0180
	v_readlane_b32 s82, v3, 22                                 // 00000000A0A4: D2890052 00012D03
	s_and_b32 s82, s82, 0xffffff                               // 00000000A0AC: 8652FF52 00FFFFFF
	s_cmp_lt_u32 s82, s66                                      // 00000000A0B4: BF0A4252
	s_cselect_b32 s20, s36, s60                                // 00000000A0B8: 85143C24
	v_readlane_b32 s82, v3, 23                                 // 00000000A0BC: D2890052 00012F03
	s_and_b32 s82, s82, 0xffffff                               // 00000000A0C4: 8652FF52 00FFFFFF
	s_cmp_lt_u32 s82, s66                                      // 00000000A0CC: BF0A4252
	s_cselect_b32 s21, s36, s60                                // 00000000A0D0: 85153C24
	s_mov_b64 exec, s[20:21]                                   // 00000000A0D4: BEFE0114
	global_atomic_add_f32 v6, v89, s[8:9]                      // 00000000A0D8: DD348000 00085906
	s_mov_b64 exec, s[36:37]                                   // 00000000A0E0: BEFE0124
	ds_write_b64 v20, v[70:71]                                 // 00000000A0E4: D89A0000 00004614
	ds_write_b64 v20, v[74:75] offset:2176                     // 00000000A0EC: D89A0880 00004A14
	ds_write_b64 v20, v[78:79] offset:4352                     // 00000000A0F4: D89A1100 00004E14
	ds_write_b64 v20, v[82:83] offset:6528                     // 00000000A0FC: D89A1980 00005214
	ds_write_b64 v20, v[86:87] offset:8704                     // 00000000A104: D89A2200 00005614
	ds_write_b64 v20, v[90:91] offset:10880                    // 00000000A10C: D89A2A80 00005A14
	s_waitcnt lgkmcnt(0)                                       // 00000000A114: BF8CC07F
	s_barrier                                                  // 00000000A118: BF8A0000
	ds_read_b32 v70, v21                                       // 00000000A11C: D86C0000 46000015
	ds_read_b32 v71, v21 offset:64                             // 00000000A124: D86C0040 47000015
	ds_read_b32 v74, v21 offset:2176                           // 00000000A12C: D86C0880 4A000015
	ds_read_b32 v75, v21 offset:2240                           // 00000000A134: D86C08C0 4B000015
	ds_read_b32 v78, v21 offset:4352                           // 00000000A13C: D86C1100 4E000015
	ds_read_b32 v79, v21 offset:4416                           // 00000000A144: D86C1140 4F000015
	ds_read_b32 v82, v21 offset:6528                           // 00000000A14C: D86C1980 52000015
	ds_read_b32 v83, v21 offset:6592                           // 00000000A154: D86C19C0 53000015
	ds_read_b32 v86, v21 offset:8704                           // 00000000A15C: D86C2200 56000015
	ds_read_b32 v87, v21 offset:8768                           // 00000000A164: D86C2240 57000015
	ds_read_b32 v90, v21 offset:10880                          // 00000000A16C: D86C2A80 5A000015
	ds_read_b32 v91, v21 offset:10944                          // 00000000A174: D86C2AC0 5B000015
	s_waitcnt lgkmcnt(0)                                       // 00000000A17C: BF8CC07F
	v_mov_b32_e32 v7, 0                                        // 00000000A180: 7E0E0280
	s_mov_b64 exec, s[36:37]                                   // 00000000A184: BEFE0124
	v_mov_b32_e32 v6, v54                                      // 00000000A188: 7E0C0336
	s_mov_b64 s[60:61], 0                                      // 00000000A18C: BEBC0180
	v_readlane_b32 s82, v3, 0                                  // 00000000A190: D2890052 00010103
	s_and_b32 s82, s82, 0xffffff                               // 00000000A198: 8652FF52 00FFFFFF
	s_cmp_lt_u32 s82, s66                                      // 00000000A1A0: BF0A4252
	s_cselect_b32 s20, s36, s60                                // 00000000A1A4: 85143C24
	v_readlane_b32 s82, v3, 1                                  // 00000000A1A8: D2890052 00010303
	s_and_b32 s82, s82, 0xffffff                               // 00000000A1B0: 8652FF52 00FFFFFF
	s_cmp_lt_u32 s82, s66                                      // 00000000A1B8: BF0A4252
	s_cselect_b32 s21, s36, s60                                // 00000000A1BC: 85153C24
	s_mov_b64 exec, s[20:21]                                   // 00000000A1C0: BEFE0114
	global_atomic_add_f32 v6, v70, s[8:9] offset:8             // 00000000A1C4: DD348008 00084606
	s_mov_b64 exec, s[36:37]                                   // 00000000A1CC: BEFE0124
	v_mov_b32_e32 v6, v55                                      // 00000000A1D0: 7E0C0337
	s_mov_b64 s[60:61], 0                                      // 00000000A1D4: BEBC0180
	v_readlane_b32 s82, v3, 2                                  // 00000000A1D8: D2890052 00010503
	s_and_b32 s82, s82, 0xffffff                               // 00000000A1E0: 8652FF52 00FFFFFF
	s_cmp_lt_u32 s82, s66                                      // 00000000A1E8: BF0A4252
	s_cselect_b32 s20, s36, s60                                // 00000000A1EC: 85143C24
	v_readlane_b32 s82, v3, 3                                  // 00000000A1F0: D2890052 00010703
	s_and_b32 s82, s82, 0xffffff                               // 00000000A1F8: 8652FF52 00FFFFFF
	s_cmp_lt_u32 s82, s66                                      // 00000000A200: BF0A4252
	s_cselect_b32 s21, s36, s60                                // 00000000A204: 85153C24
	s_mov_b64 exec, s[20:21]                                   // 00000000A208: BEFE0114
	global_atomic_add_f32 v6, v71, s[8:9] offset:8             // 00000000A20C: DD348008 00084706
	s_mov_b64 exec, s[36:37]                                   // 00000000A214: BEFE0124
	v_mov_b32_e32 v6, v56                                      // 00000000A218: 7E0C0338
	s_mov_b64 s[60:61], 0                                      // 00000000A21C: BEBC0180
	v_readlane_b32 s82, v3, 4                                  // 00000000A220: D2890052 00010903
	s_and_b32 s82, s82, 0xffffff                               // 00000000A228: 8652FF52 00FFFFFF
	s_cmp_lt_u32 s82, s66                                      // 00000000A230: BF0A4252
	s_cselect_b32 s20, s36, s60                                // 00000000A234: 85143C24
	v_readlane_b32 s82, v3, 5                                  // 00000000A238: D2890052 00010B03
	s_and_b32 s82, s82, 0xffffff                               // 00000000A240: 8652FF52 00FFFFFF
	s_cmp_lt_u32 s82, s66                                      // 00000000A248: BF0A4252
	s_cselect_b32 s21, s36, s60                                // 00000000A24C: 85153C24
	s_mov_b64 exec, s[20:21]                                   // 00000000A250: BEFE0114
	global_atomic_add_f32 v6, v74, s[8:9] offset:8             // 00000000A254: DD348008 00084A06
	s_mov_b64 exec, s[36:37]                                   // 00000000A25C: BEFE0124
	v_mov_b32_e32 v6, v57                                      // 00000000A260: 7E0C0339
	s_mov_b64 s[60:61], 0                                      // 00000000A264: BEBC0180
	v_readlane_b32 s82, v3, 6                                  // 00000000A268: D2890052 00010D03
	s_and_b32 s82, s82, 0xffffff                               // 00000000A270: 8652FF52 00FFFFFF
	s_cmp_lt_u32 s82, s66                                      // 00000000A278: BF0A4252
	s_cselect_b32 s20, s36, s60                                // 00000000A27C: 85143C24
	v_readlane_b32 s82, v3, 7                                  // 00000000A280: D2890052 00010F03
	s_and_b32 s82, s82, 0xffffff                               // 00000000A288: 8652FF52 00FFFFFF
	s_cmp_lt_u32 s82, s66                                      // 00000000A290: BF0A4252
	s_cselect_b32 s21, s36, s60                                // 00000000A294: 85153C24
	s_mov_b64 exec, s[20:21]                                   // 00000000A298: BEFE0114
	global_atomic_add_f32 v6, v75, s[8:9] offset:8             // 00000000A29C: DD348008 00084B06
	s_mov_b64 exec, s[36:37]                                   // 00000000A2A4: BEFE0124
	v_mov_b32_e32 v6, v58                                      // 00000000A2A8: 7E0C033A
	s_mov_b64 s[60:61], 0                                      // 00000000A2AC: BEBC0180
	v_readlane_b32 s82, v3, 8                                  // 00000000A2B0: D2890052 00011103
	s_and_b32 s82, s82, 0xffffff                               // 00000000A2B8: 8652FF52 00FFFFFF
	s_cmp_lt_u32 s82, s66                                      // 00000000A2C0: BF0A4252
	s_cselect_b32 s20, s36, s60                                // 00000000A2C4: 85143C24
	v_readlane_b32 s82, v3, 9                                  // 00000000A2C8: D2890052 00011303
	s_and_b32 s82, s82, 0xffffff                               // 00000000A2D0: 8652FF52 00FFFFFF
	s_cmp_lt_u32 s82, s66                                      // 00000000A2D8: BF0A4252
	s_cselect_b32 s21, s36, s60                                // 00000000A2DC: 85153C24
	s_mov_b64 exec, s[20:21]                                   // 00000000A2E0: BEFE0114
	global_atomic_add_f32 v6, v78, s[8:9] offset:8             // 00000000A2E4: DD348008 00084E06
	s_mov_b64 exec, s[36:37]                                   // 00000000A2EC: BEFE0124
	v_mov_b32_e32 v6, v59                                      // 00000000A2F0: 7E0C033B
	s_mov_b64 s[60:61], 0                                      // 00000000A2F4: BEBC0180
	v_readlane_b32 s82, v3, 10                                 // 00000000A2F8: D2890052 00011503
	s_and_b32 s82, s82, 0xffffff                               // 00000000A300: 8652FF52 00FFFFFF
	s_cmp_lt_u32 s82, s66                                      // 00000000A308: BF0A4252
	s_cselect_b32 s20, s36, s60                                // 00000000A30C: 85143C24
	v_readlane_b32 s82, v3, 11                                 // 00000000A310: D2890052 00011703
	s_and_b32 s82, s82, 0xffffff                               // 00000000A318: 8652FF52 00FFFFFF
	s_cmp_lt_u32 s82, s66                                      // 00000000A320: BF0A4252
	s_cselect_b32 s21, s36, s60                                // 00000000A324: 85153C24
	s_mov_b64 exec, s[20:21]                                   // 00000000A328: BEFE0114
	global_atomic_add_f32 v6, v79, s[8:9] offset:8             // 00000000A32C: DD348008 00084F06
	s_mov_b64 exec, s[36:37]                                   // 00000000A334: BEFE0124
	v_mov_b32_e32 v6, v60                                      // 00000000A338: 7E0C033C
	s_mov_b64 s[60:61], 0                                      // 00000000A33C: BEBC0180
	v_readlane_b32 s82, v3, 12                                 // 00000000A340: D2890052 00011903
	s_and_b32 s82, s82, 0xffffff                               // 00000000A348: 8652FF52 00FFFFFF
	s_cmp_lt_u32 s82, s66                                      // 00000000A350: BF0A4252
	s_cselect_b32 s20, s36, s60                                // 00000000A354: 85143C24
	v_readlane_b32 s82, v3, 13                                 // 00000000A358: D2890052 00011B03
	s_and_b32 s82, s82, 0xffffff                               // 00000000A360: 8652FF52 00FFFFFF
	s_cmp_lt_u32 s82, s66                                      // 00000000A368: BF0A4252
	s_cselect_b32 s21, s36, s60                                // 00000000A36C: 85153C24
	s_mov_b64 exec, s[20:21]                                   // 00000000A370: BEFE0114
	global_atomic_add_f32 v6, v82, s[8:9] offset:8             // 00000000A374: DD348008 00085206
	s_mov_b64 exec, s[36:37]                                   // 00000000A37C: BEFE0124
	v_mov_b32_e32 v6, v61                                      // 00000000A380: 7E0C033D
	s_mov_b64 s[60:61], 0                                      // 00000000A384: BEBC0180
	v_readlane_b32 s82, v3, 14                                 // 00000000A388: D2890052 00011D03
	s_and_b32 s82, s82, 0xffffff                               // 00000000A390: 8652FF52 00FFFFFF
	s_cmp_lt_u32 s82, s66                                      // 00000000A398: BF0A4252
	s_cselect_b32 s20, s36, s60                                // 00000000A39C: 85143C24
	v_readlane_b32 s82, v3, 15                                 // 00000000A3A0: D2890052 00011F03
	s_and_b32 s82, s82, 0xffffff                               // 00000000A3A8: 8652FF52 00FFFFFF
	s_cmp_lt_u32 s82, s66                                      // 00000000A3B0: BF0A4252
	s_cselect_b32 s21, s36, s60                                // 00000000A3B4: 85153C24
	s_mov_b64 exec, s[20:21]                                   // 00000000A3B8: BEFE0114
	global_atomic_add_f32 v6, v83, s[8:9] offset:8             // 00000000A3BC: DD348008 00085306
	s_mov_b64 exec, s[36:37]                                   // 00000000A3C4: BEFE0124
	v_mov_b32_e32 v6, v62                                      // 00000000A3C8: 7E0C033E
	s_mov_b64 s[60:61], 0                                      // 00000000A3CC: BEBC0180
	v_readlane_b32 s82, v3, 16                                 // 00000000A3D0: D2890052 00012103
	s_and_b32 s82, s82, 0xffffff                               // 00000000A3D8: 8652FF52 00FFFFFF
	s_cmp_lt_u32 s82, s66                                      // 00000000A3E0: BF0A4252
	s_cselect_b32 s20, s36, s60                                // 00000000A3E4: 85143C24
	v_readlane_b32 s82, v3, 17                                 // 00000000A3E8: D2890052 00012303
	s_and_b32 s82, s82, 0xffffff                               // 00000000A3F0: 8652FF52 00FFFFFF
	s_cmp_lt_u32 s82, s66                                      // 00000000A3F8: BF0A4252
	s_cselect_b32 s21, s36, s60                                // 00000000A3FC: 85153C24
	s_mov_b64 exec, s[20:21]                                   // 00000000A400: BEFE0114
	global_atomic_add_f32 v6, v86, s[8:9] offset:8             // 00000000A404: DD348008 00085606
	s_mov_b64 exec, s[36:37]                                   // 00000000A40C: BEFE0124
	v_mov_b32_e32 v6, v63                                      // 00000000A410: 7E0C033F
	s_mov_b64 s[60:61], 0                                      // 00000000A414: BEBC0180
	v_readlane_b32 s82, v3, 18                                 // 00000000A418: D2890052 00012503
	s_and_b32 s82, s82, 0xffffff                               // 00000000A420: 8652FF52 00FFFFFF
	s_cmp_lt_u32 s82, s66                                      // 00000000A428: BF0A4252
	s_cselect_b32 s20, s36, s60                                // 00000000A42C: 85143C24
	v_readlane_b32 s82, v3, 19                                 // 00000000A430: D2890052 00012703
	s_and_b32 s82, s82, 0xffffff                               // 00000000A438: 8652FF52 00FFFFFF
	s_cmp_lt_u32 s82, s66                                      // 00000000A440: BF0A4252
	s_cselect_b32 s21, s36, s60                                // 00000000A444: 85153C24
	s_mov_b64 exec, s[20:21]                                   // 00000000A448: BEFE0114
	global_atomic_add_f32 v6, v87, s[8:9] offset:8             // 00000000A44C: DD348008 00085706
	s_mov_b64 exec, s[36:37]                                   // 00000000A454: BEFE0124
	v_mov_b32_e32 v6, v64                                      // 00000000A458: 7E0C0340
	s_mov_b64 s[60:61], 0                                      // 00000000A45C: BEBC0180
	v_readlane_b32 s82, v3, 20                                 // 00000000A460: D2890052 00012903
	s_and_b32 s82, s82, 0xffffff                               // 00000000A468: 8652FF52 00FFFFFF
	s_cmp_lt_u32 s82, s66                                      // 00000000A470: BF0A4252
	s_cselect_b32 s20, s36, s60                                // 00000000A474: 85143C24
	v_readlane_b32 s82, v3, 21                                 // 00000000A478: D2890052 00012B03
	s_and_b32 s82, s82, 0xffffff                               // 00000000A480: 8652FF52 00FFFFFF
	s_cmp_lt_u32 s82, s66                                      // 00000000A488: BF0A4252
	s_cselect_b32 s21, s36, s60                                // 00000000A48C: 85153C24
	s_mov_b64 exec, s[20:21]                                   // 00000000A490: BEFE0114
	global_atomic_add_f32 v6, v90, s[8:9] offset:8             // 00000000A494: DD348008 00085A06
	s_mov_b64 exec, s[36:37]                                   // 00000000A49C: BEFE0124
	v_mov_b32_e32 v6, v65                                      // 00000000A4A0: 7E0C0341
	s_mov_b64 s[60:61], 0                                      // 00000000A4A4: BEBC0180
	v_readlane_b32 s82, v3, 22                                 // 00000000A4A8: D2890052 00012D03
	s_and_b32 s82, s82, 0xffffff                               // 00000000A4B0: 8652FF52 00FFFFFF
	s_cmp_lt_u32 s82, s66                                      // 00000000A4B8: BF0A4252
	s_cselect_b32 s20, s36, s60                                // 00000000A4BC: 85143C24
	v_readlane_b32 s82, v3, 23                                 // 00000000A4C0: D2890052 00012F03
	s_and_b32 s82, s82, 0xffffff                               // 00000000A4C8: 8652FF52 00FFFFFF
	s_cmp_lt_u32 s82, s66                                      // 00000000A4D0: BF0A4252
	s_cselect_b32 s21, s36, s60                                // 00000000A4D4: 85153C24
	s_mov_b64 exec, s[20:21]                                   // 00000000A4D8: BEFE0114
	global_atomic_add_f32 v6, v91, s[8:9] offset:8             // 00000000A4DC: DD348008 00085B06
	s_mov_b64 exec, s[36:37]                                   // 00000000A4E4: BEFE0124
	ds_write_b64 v20, v[92:93]                                 // 00000000A4E8: D89A0000 00005C14
	ds_write_b64 v20, v[96:97] offset:2176                     // 00000000A4F0: D89A0880 00006014
	ds_write_b64 v20, v[100:101] offset:4352                   // 00000000A4F8: D89A1100 00006414
	ds_write_b64 v20, v[104:105] offset:6528                   // 00000000A500: D89A1980 00006814
	ds_write_b64 v20, v[108:109] offset:8704                   // 00000000A508: D89A2200 00006C14
	ds_write_b64 v20, v[112:113] offset:10880                  // 00000000A510: D89A2A80 00007014
	s_waitcnt lgkmcnt(0)                                       // 00000000A518: BF8CC07F
	s_barrier                                                  // 00000000A51C: BF8A0000
	ds_read_b32 v92, v21                                       // 00000000A520: D86C0000 5C000015
	ds_read_b32 v93, v21 offset:64                             // 00000000A528: D86C0040 5D000015
	ds_read_b32 v96, v21 offset:2176                           // 00000000A530: D86C0880 60000015
	ds_read_b32 v97, v21 offset:2240                           // 00000000A538: D86C08C0 61000015
	ds_read_b32 v100, v21 offset:4352                          // 00000000A540: D86C1100 64000015
	ds_read_b32 v101, v21 offset:4416                          // 00000000A548: D86C1140 65000015
	ds_read_b32 v104, v21 offset:6528                          // 00000000A550: D86C1980 68000015
	ds_read_b32 v105, v21 offset:6592                          // 00000000A558: D86C19C0 69000015
	ds_read_b32 v108, v21 offset:8704                          // 00000000A560: D86C2200 6C000015
	ds_read_b32 v109, v21 offset:8768                          // 00000000A568: D86C2240 6D000015
	ds_read_b32 v112, v21 offset:10880                         // 00000000A570: D86C2A80 70000015
	ds_read_b32 v113, v21 offset:10944                         // 00000000A578: D86C2AC0 71000015
	s_mul_i32 s60, s65, 4                                      // 00000000A580: 923C8441
	s_add_u32 s8, s60, s8                                      // 00000000A584: 8008083C
	s_addc_u32 s9, 0, s9                                       // 00000000A588: 82090980
	s_waitcnt lgkmcnt(0)                                       // 00000000A58C: BF8CC07F
	v_mov_b32_e32 v7, 0                                        // 00000000A590: 7E0E0280
	s_mov_b64 exec, s[36:37]                                   // 00000000A594: BEFE0124
	v_mov_b32_e32 v6, v54                                      // 00000000A598: 7E0C0336
	s_mov_b64 s[60:61], 0                                      // 00000000A59C: BEBC0180
	v_readlane_b32 s82, v3, 0                                  // 00000000A5A0: D2890052 00010103
	s_and_b32 s82, s82, 0xffffff                               // 00000000A5A8: 8652FF52 00FFFFFF
	s_cmp_lt_u32 s82, s66                                      // 00000000A5B0: BF0A4252
	s_cselect_b32 s20, s36, s60                                // 00000000A5B4: 85143C24
	v_readlane_b32 s82, v3, 1                                  // 00000000A5B8: D2890052 00010303
	s_and_b32 s82, s82, 0xffffff                               // 00000000A5C0: 8652FF52 00FFFFFF
	s_cmp_lt_u32 s82, s66                                      // 00000000A5C8: BF0A4252
	s_cselect_b32 s21, s36, s60                                // 00000000A5CC: 85153C24
	s_mov_b64 exec, s[20:21]                                   // 00000000A5D0: BEFE0114
	global_atomic_add_f32 v6, v92, s[8:9]                      // 00000000A5D4: DD348000 00085C06
	s_mov_b64 exec, s[36:37]                                   // 00000000A5DC: BEFE0124
	v_mov_b32_e32 v6, v55                                      // 00000000A5E0: 7E0C0337
	s_mov_b64 s[60:61], 0                                      // 00000000A5E4: BEBC0180
	v_readlane_b32 s82, v3, 2                                  // 00000000A5E8: D2890052 00010503
	s_and_b32 s82, s82, 0xffffff                               // 00000000A5F0: 8652FF52 00FFFFFF
	s_cmp_lt_u32 s82, s66                                      // 00000000A5F8: BF0A4252
	s_cselect_b32 s20, s36, s60                                // 00000000A5FC: 85143C24
	v_readlane_b32 s82, v3, 3                                  // 00000000A600: D2890052 00010703
	s_and_b32 s82, s82, 0xffffff                               // 00000000A608: 8652FF52 00FFFFFF
	s_cmp_lt_u32 s82, s66                                      // 00000000A610: BF0A4252
	s_cselect_b32 s21, s36, s60                                // 00000000A614: 85153C24
	s_mov_b64 exec, s[20:21]                                   // 00000000A618: BEFE0114
	global_atomic_add_f32 v6, v93, s[8:9]                      // 00000000A61C: DD348000 00085D06
	s_mov_b64 exec, s[36:37]                                   // 00000000A624: BEFE0124
	v_mov_b32_e32 v6, v56                                      // 00000000A628: 7E0C0338
	s_mov_b64 s[60:61], 0                                      // 00000000A62C: BEBC0180
	v_readlane_b32 s82, v3, 4                                  // 00000000A630: D2890052 00010903
	s_and_b32 s82, s82, 0xffffff                               // 00000000A638: 8652FF52 00FFFFFF
	s_cmp_lt_u32 s82, s66                                      // 00000000A640: BF0A4252
	s_cselect_b32 s20, s36, s60                                // 00000000A644: 85143C24
	v_readlane_b32 s82, v3, 5                                  // 00000000A648: D2890052 00010B03
	s_and_b32 s82, s82, 0xffffff                               // 00000000A650: 8652FF52 00FFFFFF
	s_cmp_lt_u32 s82, s66                                      // 00000000A658: BF0A4252
	s_cselect_b32 s21, s36, s60                                // 00000000A65C: 85153C24
	s_mov_b64 exec, s[20:21]                                   // 00000000A660: BEFE0114
	global_atomic_add_f32 v6, v96, s[8:9]                      // 00000000A664: DD348000 00086006
	s_mov_b64 exec, s[36:37]                                   // 00000000A66C: BEFE0124
	v_mov_b32_e32 v6, v57                                      // 00000000A670: 7E0C0339
	s_mov_b64 s[60:61], 0                                      // 00000000A674: BEBC0180
	v_readlane_b32 s82, v3, 6                                  // 00000000A678: D2890052 00010D03
	s_and_b32 s82, s82, 0xffffff                               // 00000000A680: 8652FF52 00FFFFFF
	s_cmp_lt_u32 s82, s66                                      // 00000000A688: BF0A4252
	s_cselect_b32 s20, s36, s60                                // 00000000A68C: 85143C24
	v_readlane_b32 s82, v3, 7                                  // 00000000A690: D2890052 00010F03
	s_and_b32 s82, s82, 0xffffff                               // 00000000A698: 8652FF52 00FFFFFF
	s_cmp_lt_u32 s82, s66                                      // 00000000A6A0: BF0A4252
	s_cselect_b32 s21, s36, s60                                // 00000000A6A4: 85153C24
	s_mov_b64 exec, s[20:21]                                   // 00000000A6A8: BEFE0114
	global_atomic_add_f32 v6, v97, s[8:9]                      // 00000000A6AC: DD348000 00086106
	s_mov_b64 exec, s[36:37]                                   // 00000000A6B4: BEFE0124
	v_mov_b32_e32 v6, v58                                      // 00000000A6B8: 7E0C033A
	s_mov_b64 s[60:61], 0                                      // 00000000A6BC: BEBC0180
	v_readlane_b32 s82, v3, 8                                  // 00000000A6C0: D2890052 00011103
	s_and_b32 s82, s82, 0xffffff                               // 00000000A6C8: 8652FF52 00FFFFFF
	s_cmp_lt_u32 s82, s66                                      // 00000000A6D0: BF0A4252
	s_cselect_b32 s20, s36, s60                                // 00000000A6D4: 85143C24
	v_readlane_b32 s82, v3, 9                                  // 00000000A6D8: D2890052 00011303
	s_and_b32 s82, s82, 0xffffff                               // 00000000A6E0: 8652FF52 00FFFFFF
	s_cmp_lt_u32 s82, s66                                      // 00000000A6E8: BF0A4252
	s_cselect_b32 s21, s36, s60                                // 00000000A6EC: 85153C24
	s_mov_b64 exec, s[20:21]                                   // 00000000A6F0: BEFE0114
	global_atomic_add_f32 v6, v100, s[8:9]                     // 00000000A6F4: DD348000 00086406
	s_mov_b64 exec, s[36:37]                                   // 00000000A6FC: BEFE0124
	v_mov_b32_e32 v6, v59                                      // 00000000A700: 7E0C033B
	s_mov_b64 s[60:61], 0                                      // 00000000A704: BEBC0180
	v_readlane_b32 s82, v3, 10                                 // 00000000A708: D2890052 00011503
	s_and_b32 s82, s82, 0xffffff                               // 00000000A710: 8652FF52 00FFFFFF
	s_cmp_lt_u32 s82, s66                                      // 00000000A718: BF0A4252
	s_cselect_b32 s20, s36, s60                                // 00000000A71C: 85143C24
	v_readlane_b32 s82, v3, 11                                 // 00000000A720: D2890052 00011703
	s_and_b32 s82, s82, 0xffffff                               // 00000000A728: 8652FF52 00FFFFFF
	s_cmp_lt_u32 s82, s66                                      // 00000000A730: BF0A4252
	s_cselect_b32 s21, s36, s60                                // 00000000A734: 85153C24
	s_mov_b64 exec, s[20:21]                                   // 00000000A738: BEFE0114
	global_atomic_add_f32 v6, v101, s[8:9]                     // 00000000A73C: DD348000 00086506
	s_mov_b64 exec, s[36:37]                                   // 00000000A744: BEFE0124
	v_mov_b32_e32 v6, v60                                      // 00000000A748: 7E0C033C
	s_mov_b64 s[60:61], 0                                      // 00000000A74C: BEBC0180
	v_readlane_b32 s82, v3, 12                                 // 00000000A750: D2890052 00011903
	s_and_b32 s82, s82, 0xffffff                               // 00000000A758: 8652FF52 00FFFFFF
	s_cmp_lt_u32 s82, s66                                      // 00000000A760: BF0A4252
	s_cselect_b32 s20, s36, s60                                // 00000000A764: 85143C24
	v_readlane_b32 s82, v3, 13                                 // 00000000A768: D2890052 00011B03
	s_and_b32 s82, s82, 0xffffff                               // 00000000A770: 8652FF52 00FFFFFF
	s_cmp_lt_u32 s82, s66                                      // 00000000A778: BF0A4252
	s_cselect_b32 s21, s36, s60                                // 00000000A77C: 85153C24
	s_mov_b64 exec, s[20:21]                                   // 00000000A780: BEFE0114
	global_atomic_add_f32 v6, v104, s[8:9]                     // 00000000A784: DD348000 00086806
	s_mov_b64 exec, s[36:37]                                   // 00000000A78C: BEFE0124
	v_mov_b32_e32 v6, v61                                      // 00000000A790: 7E0C033D
	s_mov_b64 s[60:61], 0                                      // 00000000A794: BEBC0180
	v_readlane_b32 s82, v3, 14                                 // 00000000A798: D2890052 00011D03
	s_and_b32 s82, s82, 0xffffff                               // 00000000A7A0: 8652FF52 00FFFFFF
	s_cmp_lt_u32 s82, s66                                      // 00000000A7A8: BF0A4252
	s_cselect_b32 s20, s36, s60                                // 00000000A7AC: 85143C24
	v_readlane_b32 s82, v3, 15                                 // 00000000A7B0: D2890052 00011F03
	s_and_b32 s82, s82, 0xffffff                               // 00000000A7B8: 8652FF52 00FFFFFF
	s_cmp_lt_u32 s82, s66                                      // 00000000A7C0: BF0A4252
	s_cselect_b32 s21, s36, s60                                // 00000000A7C4: 85153C24
	s_mov_b64 exec, s[20:21]                                   // 00000000A7C8: BEFE0114
	global_atomic_add_f32 v6, v105, s[8:9]                     // 00000000A7CC: DD348000 00086906
	s_mov_b64 exec, s[36:37]                                   // 00000000A7D4: BEFE0124
	v_mov_b32_e32 v6, v62                                      // 00000000A7D8: 7E0C033E
	s_mov_b64 s[60:61], 0                                      // 00000000A7DC: BEBC0180
	v_readlane_b32 s82, v3, 16                                 // 00000000A7E0: D2890052 00012103
	s_and_b32 s82, s82, 0xffffff                               // 00000000A7E8: 8652FF52 00FFFFFF
	s_cmp_lt_u32 s82, s66                                      // 00000000A7F0: BF0A4252
	s_cselect_b32 s20, s36, s60                                // 00000000A7F4: 85143C24
	v_readlane_b32 s82, v3, 17                                 // 00000000A7F8: D2890052 00012303
	s_and_b32 s82, s82, 0xffffff                               // 00000000A800: 8652FF52 00FFFFFF
	s_cmp_lt_u32 s82, s66                                      // 00000000A808: BF0A4252
	s_cselect_b32 s21, s36, s60                                // 00000000A80C: 85153C24
	s_mov_b64 exec, s[20:21]                                   // 00000000A810: BEFE0114
	global_atomic_add_f32 v6, v108, s[8:9]                     // 00000000A814: DD348000 00086C06
	s_mov_b64 exec, s[36:37]                                   // 00000000A81C: BEFE0124
	v_mov_b32_e32 v6, v63                                      // 00000000A820: 7E0C033F
	s_mov_b64 s[60:61], 0                                      // 00000000A824: BEBC0180
	v_readlane_b32 s82, v3, 18                                 // 00000000A828: D2890052 00012503
	s_and_b32 s82, s82, 0xffffff                               // 00000000A830: 8652FF52 00FFFFFF
	s_cmp_lt_u32 s82, s66                                      // 00000000A838: BF0A4252
	s_cselect_b32 s20, s36, s60                                // 00000000A83C: 85143C24
	v_readlane_b32 s82, v3, 19                                 // 00000000A840: D2890052 00012703
	s_and_b32 s82, s82, 0xffffff                               // 00000000A848: 8652FF52 00FFFFFF
	s_cmp_lt_u32 s82, s66                                      // 00000000A850: BF0A4252
	s_cselect_b32 s21, s36, s60                                // 00000000A854: 85153C24
	s_mov_b64 exec, s[20:21]                                   // 00000000A858: BEFE0114
	global_atomic_add_f32 v6, v109, s[8:9]                     // 00000000A85C: DD348000 00086D06
	s_mov_b64 exec, s[36:37]                                   // 00000000A864: BEFE0124
	v_mov_b32_e32 v6, v64                                      // 00000000A868: 7E0C0340
	s_mov_b64 s[60:61], 0                                      // 00000000A86C: BEBC0180
	v_readlane_b32 s82, v3, 20                                 // 00000000A870: D2890052 00012903
	s_and_b32 s82, s82, 0xffffff                               // 00000000A878: 8652FF52 00FFFFFF
	s_cmp_lt_u32 s82, s66                                      // 00000000A880: BF0A4252
	s_cselect_b32 s20, s36, s60                                // 00000000A884: 85143C24
	v_readlane_b32 s82, v3, 21                                 // 00000000A888: D2890052 00012B03
	s_and_b32 s82, s82, 0xffffff                               // 00000000A890: 8652FF52 00FFFFFF
	s_cmp_lt_u32 s82, s66                                      // 00000000A898: BF0A4252
	s_cselect_b32 s21, s36, s60                                // 00000000A89C: 85153C24
	s_mov_b64 exec, s[20:21]                                   // 00000000A8A0: BEFE0114
	global_atomic_add_f32 v6, v112, s[8:9]                     // 00000000A8A4: DD348000 00087006
	s_mov_b64 exec, s[36:37]                                   // 00000000A8AC: BEFE0124
	v_mov_b32_e32 v6, v65                                      // 00000000A8B0: 7E0C0341
	s_mov_b64 s[60:61], 0                                      // 00000000A8B4: BEBC0180
	v_readlane_b32 s82, v3, 22                                 // 00000000A8B8: D2890052 00012D03
	s_and_b32 s82, s82, 0xffffff                               // 00000000A8C0: 8652FF52 00FFFFFF
	s_cmp_lt_u32 s82, s66                                      // 00000000A8C8: BF0A4252
	s_cselect_b32 s20, s36, s60                                // 00000000A8CC: 85143C24
	v_readlane_b32 s82, v3, 23                                 // 00000000A8D0: D2890052 00012F03
	s_and_b32 s82, s82, 0xffffff                               // 00000000A8D8: 8652FF52 00FFFFFF
	s_cmp_lt_u32 s82, s66                                      // 00000000A8E0: BF0A4252
	s_cselect_b32 s21, s36, s60                                // 00000000A8E4: 85153C24
	s_mov_b64 exec, s[20:21]                                   // 00000000A8E8: BEFE0114
	global_atomic_add_f32 v6, v113, s[8:9]                     // 00000000A8EC: DD348000 00087106
	s_mov_b64 exec, s[36:37]                                   // 00000000A8F4: BEFE0124
	ds_write_b64 v20, v[94:95]                                 // 00000000A8F8: D89A0000 00005E14
	ds_write_b64 v20, v[98:99] offset:2176                     // 00000000A900: D89A0880 00006214
	ds_write_b64 v20, v[102:103] offset:4352                   // 00000000A908: D89A1100 00006614
	ds_write_b64 v20, v[106:107] offset:6528                   // 00000000A910: D89A1980 00006A14
	ds_write_b64 v20, v[110:111] offset:8704                   // 00000000A918: D89A2200 00006E14
	ds_write_b64 v20, v[114:115] offset:10880                  // 00000000A920: D89A2A80 00007214
	s_waitcnt lgkmcnt(0)                                       // 00000000A928: BF8CC07F
	s_barrier                                                  // 00000000A92C: BF8A0000
	ds_read_b32 v94, v21                                       // 00000000A930: D86C0000 5E000015
	ds_read_b32 v95, v21 offset:64                             // 00000000A938: D86C0040 5F000015
	ds_read_b32 v98, v21 offset:2176                           // 00000000A940: D86C0880 62000015
	ds_read_b32 v99, v21 offset:2240                           // 00000000A948: D86C08C0 63000015
	ds_read_b32 v102, v21 offset:4352                          // 00000000A950: D86C1100 66000015
	ds_read_b32 v103, v21 offset:4416                          // 00000000A958: D86C1140 67000015
	ds_read_b32 v106, v21 offset:6528                          // 00000000A960: D86C1980 6A000015
	ds_read_b32 v107, v21 offset:6592                          // 00000000A968: D86C19C0 6B000015
	ds_read_b32 v110, v21 offset:8704                          // 00000000A970: D86C2200 6E000015
	ds_read_b32 v111, v21 offset:8768                          // 00000000A978: D86C2240 6F000015
	ds_read_b32 v114, v21 offset:10880                         // 00000000A980: D86C2A80 72000015
	ds_read_b32 v115, v21 offset:10944                         // 00000000A988: D86C2AC0 73000015
	s_waitcnt lgkmcnt(0)                                       // 00000000A990: BF8CC07F
	v_mov_b32_e32 v7, 0                                        // 00000000A994: 7E0E0280
	s_mov_b64 exec, s[36:37]                                   // 00000000A998: BEFE0124
	v_mov_b32_e32 v6, v54                                      // 00000000A99C: 7E0C0336
	s_mov_b64 s[60:61], 0                                      // 00000000A9A0: BEBC0180
	v_readlane_b32 s82, v3, 0                                  // 00000000A9A4: D2890052 00010103
	s_and_b32 s82, s82, 0xffffff                               // 00000000A9AC: 8652FF52 00FFFFFF
	s_cmp_lt_u32 s82, s66                                      // 00000000A9B4: BF0A4252
	s_cselect_b32 s20, s36, s60                                // 00000000A9B8: 85143C24
	v_readlane_b32 s82, v3, 1                                  // 00000000A9BC: D2890052 00010303
	s_and_b32 s82, s82, 0xffffff                               // 00000000A9C4: 8652FF52 00FFFFFF
	s_cmp_lt_u32 s82, s66                                      // 00000000A9CC: BF0A4252
	s_cselect_b32 s21, s36, s60                                // 00000000A9D0: 85153C24
	s_mov_b64 exec, s[20:21]                                   // 00000000A9D4: BEFE0114
	global_atomic_add_f32 v6, v94, s[8:9] offset:8             // 00000000A9D8: DD348008 00085E06
	s_mov_b64 exec, s[36:37]                                   // 00000000A9E0: BEFE0124
	v_mov_b32_e32 v6, v55                                      // 00000000A9E4: 7E0C0337
	s_mov_b64 s[60:61], 0                                      // 00000000A9E8: BEBC0180
	v_readlane_b32 s82, v3, 2                                  // 00000000A9EC: D2890052 00010503
	s_and_b32 s82, s82, 0xffffff                               // 00000000A9F4: 8652FF52 00FFFFFF
	s_cmp_lt_u32 s82, s66                                      // 00000000A9FC: BF0A4252
	s_cselect_b32 s20, s36, s60                                // 00000000AA00: 85143C24
	v_readlane_b32 s82, v3, 3                                  // 00000000AA04: D2890052 00010703
	s_and_b32 s82, s82, 0xffffff                               // 00000000AA0C: 8652FF52 00FFFFFF
	s_cmp_lt_u32 s82, s66                                      // 00000000AA14: BF0A4252
	s_cselect_b32 s21, s36, s60                                // 00000000AA18: 85153C24
	s_mov_b64 exec, s[20:21]                                   // 00000000AA1C: BEFE0114
	global_atomic_add_f32 v6, v95, s[8:9] offset:8             // 00000000AA20: DD348008 00085F06
	s_mov_b64 exec, s[36:37]                                   // 00000000AA28: BEFE0124
	v_mov_b32_e32 v6, v56                                      // 00000000AA2C: 7E0C0338
	s_mov_b64 s[60:61], 0                                      // 00000000AA30: BEBC0180
	v_readlane_b32 s82, v3, 4                                  // 00000000AA34: D2890052 00010903
	s_and_b32 s82, s82, 0xffffff                               // 00000000AA3C: 8652FF52 00FFFFFF
	s_cmp_lt_u32 s82, s66                                      // 00000000AA44: BF0A4252
	s_cselect_b32 s20, s36, s60                                // 00000000AA48: 85143C24
	v_readlane_b32 s82, v3, 5                                  // 00000000AA4C: D2890052 00010B03
	s_and_b32 s82, s82, 0xffffff                               // 00000000AA54: 8652FF52 00FFFFFF
	s_cmp_lt_u32 s82, s66                                      // 00000000AA5C: BF0A4252
	s_cselect_b32 s21, s36, s60                                // 00000000AA60: 85153C24
	s_mov_b64 exec, s[20:21]                                   // 00000000AA64: BEFE0114
	global_atomic_add_f32 v6, v98, s[8:9] offset:8             // 00000000AA68: DD348008 00086206
	s_mov_b64 exec, s[36:37]                                   // 00000000AA70: BEFE0124
	v_mov_b32_e32 v6, v57                                      // 00000000AA74: 7E0C0339
	s_mov_b64 s[60:61], 0                                      // 00000000AA78: BEBC0180
	v_readlane_b32 s82, v3, 6                                  // 00000000AA7C: D2890052 00010D03
	s_and_b32 s82, s82, 0xffffff                               // 00000000AA84: 8652FF52 00FFFFFF
	s_cmp_lt_u32 s82, s66                                      // 00000000AA8C: BF0A4252
	s_cselect_b32 s20, s36, s60                                // 00000000AA90: 85143C24
	v_readlane_b32 s82, v3, 7                                  // 00000000AA94: D2890052 00010F03
	s_and_b32 s82, s82, 0xffffff                               // 00000000AA9C: 8652FF52 00FFFFFF
	s_cmp_lt_u32 s82, s66                                      // 00000000AAA4: BF0A4252
	s_cselect_b32 s21, s36, s60                                // 00000000AAA8: 85153C24
	s_mov_b64 exec, s[20:21]                                   // 00000000AAAC: BEFE0114
	global_atomic_add_f32 v6, v99, s[8:9] offset:8             // 00000000AAB0: DD348008 00086306
	s_mov_b64 exec, s[36:37]                                   // 00000000AAB8: BEFE0124
	v_mov_b32_e32 v6, v58                                      // 00000000AABC: 7E0C033A
	s_mov_b64 s[60:61], 0                                      // 00000000AAC0: BEBC0180
	v_readlane_b32 s82, v3, 8                                  // 00000000AAC4: D2890052 00011103
	s_and_b32 s82, s82, 0xffffff                               // 00000000AACC: 8652FF52 00FFFFFF
	s_cmp_lt_u32 s82, s66                                      // 00000000AAD4: BF0A4252
	s_cselect_b32 s20, s36, s60                                // 00000000AAD8: 85143C24
	v_readlane_b32 s82, v3, 9                                  // 00000000AADC: D2890052 00011303
	s_and_b32 s82, s82, 0xffffff                               // 00000000AAE4: 8652FF52 00FFFFFF
	s_cmp_lt_u32 s82, s66                                      // 00000000AAEC: BF0A4252
	s_cselect_b32 s21, s36, s60                                // 00000000AAF0: 85153C24
	s_mov_b64 exec, s[20:21]                                   // 00000000AAF4: BEFE0114
	global_atomic_add_f32 v6, v102, s[8:9] offset:8            // 00000000AAF8: DD348008 00086606
	s_mov_b64 exec, s[36:37]                                   // 00000000AB00: BEFE0124
	v_mov_b32_e32 v6, v59                                      // 00000000AB04: 7E0C033B
	s_mov_b64 s[60:61], 0                                      // 00000000AB08: BEBC0180
	v_readlane_b32 s82, v3, 10                                 // 00000000AB0C: D2890052 00011503
	s_and_b32 s82, s82, 0xffffff                               // 00000000AB14: 8652FF52 00FFFFFF
	s_cmp_lt_u32 s82, s66                                      // 00000000AB1C: BF0A4252
	s_cselect_b32 s20, s36, s60                                // 00000000AB20: 85143C24
	v_readlane_b32 s82, v3, 11                                 // 00000000AB24: D2890052 00011703
	s_and_b32 s82, s82, 0xffffff                               // 00000000AB2C: 8652FF52 00FFFFFF
	s_cmp_lt_u32 s82, s66                                      // 00000000AB34: BF0A4252
	s_cselect_b32 s21, s36, s60                                // 00000000AB38: 85153C24
	s_mov_b64 exec, s[20:21]                                   // 00000000AB3C: BEFE0114
	global_atomic_add_f32 v6, v103, s[8:9] offset:8            // 00000000AB40: DD348008 00086706
	s_mov_b64 exec, s[36:37]                                   // 00000000AB48: BEFE0124
	v_mov_b32_e32 v6, v60                                      // 00000000AB4C: 7E0C033C
	s_mov_b64 s[60:61], 0                                      // 00000000AB50: BEBC0180
	v_readlane_b32 s82, v3, 12                                 // 00000000AB54: D2890052 00011903
	s_and_b32 s82, s82, 0xffffff                               // 00000000AB5C: 8652FF52 00FFFFFF
	s_cmp_lt_u32 s82, s66                                      // 00000000AB64: BF0A4252
	s_cselect_b32 s20, s36, s60                                // 00000000AB68: 85143C24
	v_readlane_b32 s82, v3, 13                                 // 00000000AB6C: D2890052 00011B03
	s_and_b32 s82, s82, 0xffffff                               // 00000000AB74: 8652FF52 00FFFFFF
	s_cmp_lt_u32 s82, s66                                      // 00000000AB7C: BF0A4252
	s_cselect_b32 s21, s36, s60                                // 00000000AB80: 85153C24
	s_mov_b64 exec, s[20:21]                                   // 00000000AB84: BEFE0114
	global_atomic_add_f32 v6, v106, s[8:9] offset:8            // 00000000AB88: DD348008 00086A06
	s_mov_b64 exec, s[36:37]                                   // 00000000AB90: BEFE0124
	v_mov_b32_e32 v6, v61                                      // 00000000AB94: 7E0C033D
	s_mov_b64 s[60:61], 0                                      // 00000000AB98: BEBC0180
	v_readlane_b32 s82, v3, 14                                 // 00000000AB9C: D2890052 00011D03
	s_and_b32 s82, s82, 0xffffff                               // 00000000ABA4: 8652FF52 00FFFFFF
	s_cmp_lt_u32 s82, s66                                      // 00000000ABAC: BF0A4252
	s_cselect_b32 s20, s36, s60                                // 00000000ABB0: 85143C24
	v_readlane_b32 s82, v3, 15                                 // 00000000ABB4: D2890052 00011F03
	s_and_b32 s82, s82, 0xffffff                               // 00000000ABBC: 8652FF52 00FFFFFF
	s_cmp_lt_u32 s82, s66                                      // 00000000ABC4: BF0A4252
	s_cselect_b32 s21, s36, s60                                // 00000000ABC8: 85153C24
	s_mov_b64 exec, s[20:21]                                   // 00000000ABCC: BEFE0114
	global_atomic_add_f32 v6, v107, s[8:9] offset:8            // 00000000ABD0: DD348008 00086B06
	s_mov_b64 exec, s[36:37]                                   // 00000000ABD8: BEFE0124
	v_mov_b32_e32 v6, v62                                      // 00000000ABDC: 7E0C033E
	s_mov_b64 s[60:61], 0                                      // 00000000ABE0: BEBC0180
	v_readlane_b32 s82, v3, 16                                 // 00000000ABE4: D2890052 00012103
	s_and_b32 s82, s82, 0xffffff                               // 00000000ABEC: 8652FF52 00FFFFFF
	s_cmp_lt_u32 s82, s66                                      // 00000000ABF4: BF0A4252
	s_cselect_b32 s20, s36, s60                                // 00000000ABF8: 85143C24
	v_readlane_b32 s82, v3, 17                                 // 00000000ABFC: D2890052 00012303
	s_and_b32 s82, s82, 0xffffff                               // 00000000AC04: 8652FF52 00FFFFFF
	s_cmp_lt_u32 s82, s66                                      // 00000000AC0C: BF0A4252
	s_cselect_b32 s21, s36, s60                                // 00000000AC10: 85153C24
	s_mov_b64 exec, s[20:21]                                   // 00000000AC14: BEFE0114
	global_atomic_add_f32 v6, v110, s[8:9] offset:8            // 00000000AC18: DD348008 00086E06
	s_mov_b64 exec, s[36:37]                                   // 00000000AC20: BEFE0124
	v_mov_b32_e32 v6, v63                                      // 00000000AC24: 7E0C033F
	s_mov_b64 s[60:61], 0                                      // 00000000AC28: BEBC0180
	v_readlane_b32 s82, v3, 18                                 // 00000000AC2C: D2890052 00012503
	s_and_b32 s82, s82, 0xffffff                               // 00000000AC34: 8652FF52 00FFFFFF
	s_cmp_lt_u32 s82, s66                                      // 00000000AC3C: BF0A4252
	s_cselect_b32 s20, s36, s60                                // 00000000AC40: 85143C24
	v_readlane_b32 s82, v3, 19                                 // 00000000AC44: D2890052 00012703
	s_and_b32 s82, s82, 0xffffff                               // 00000000AC4C: 8652FF52 00FFFFFF
	s_cmp_lt_u32 s82, s66                                      // 00000000AC54: BF0A4252
	s_cselect_b32 s21, s36, s60                                // 00000000AC58: 85153C24
	s_mov_b64 exec, s[20:21]                                   // 00000000AC5C: BEFE0114
	global_atomic_add_f32 v6, v111, s[8:9] offset:8            // 00000000AC60: DD348008 00086F06
	s_mov_b64 exec, s[36:37]                                   // 00000000AC68: BEFE0124
	v_mov_b32_e32 v6, v64                                      // 00000000AC6C: 7E0C0340
	s_mov_b64 s[60:61], 0                                      // 00000000AC70: BEBC0180
	v_readlane_b32 s82, v3, 20                                 // 00000000AC74: D2890052 00012903
	s_and_b32 s82, s82, 0xffffff                               // 00000000AC7C: 8652FF52 00FFFFFF
	s_cmp_lt_u32 s82, s66                                      // 00000000AC84: BF0A4252
	s_cselect_b32 s20, s36, s60                                // 00000000AC88: 85143C24
	v_readlane_b32 s82, v3, 21                                 // 00000000AC8C: D2890052 00012B03
	s_and_b32 s82, s82, 0xffffff                               // 00000000AC94: 8652FF52 00FFFFFF
	s_cmp_lt_u32 s82, s66                                      // 00000000AC9C: BF0A4252
	s_cselect_b32 s21, s36, s60                                // 00000000ACA0: 85153C24
	s_mov_b64 exec, s[20:21]                                   // 00000000ACA4: BEFE0114
	global_atomic_add_f32 v6, v114, s[8:9] offset:8            // 00000000ACA8: DD348008 00087206
	s_mov_b64 exec, s[36:37]                                   // 00000000ACB0: BEFE0124
	v_mov_b32_e32 v6, v65                                      // 00000000ACB4: 7E0C0341
	s_mov_b64 s[60:61], 0                                      // 00000000ACB8: BEBC0180
	v_readlane_b32 s82, v3, 22                                 // 00000000ACBC: D2890052 00012D03
	s_and_b32 s82, s82, 0xffffff                               // 00000000ACC4: 8652FF52 00FFFFFF
	s_cmp_lt_u32 s82, s66                                      // 00000000ACCC: BF0A4252
	s_cselect_b32 s20, s36, s60                                // 00000000ACD0: 85143C24
	v_readlane_b32 s82, v3, 23                                 // 00000000ACD4: D2890052 00012F03
	s_and_b32 s82, s82, 0xffffff                               // 00000000ACDC: 8652FF52 00FFFFFF
	s_cmp_lt_u32 s82, s66                                      // 00000000ACE4: BF0A4252
	s_cselect_b32 s21, s36, s60                                // 00000000ACE8: 85153C24
	s_mov_b64 exec, s[20:21]                                   // 00000000ACEC: BEFE0114
	global_atomic_add_f32 v6, v115, s[8:9] offset:8            // 00000000ACF0: DD348008 00087306
	s_mov_b64 exec, s[36:37]                                   // 00000000ACF8: BEFE0124
	s_branch label_20C3                                        // 00000000ACFC: BF820000

000000000000ad00 <label_20C3>:
	s_waitcnt vmcnt(0) expcnt(0) lgkmcnt(0)                    // 00000000AD00: BF8C0000
	s_endpgm                                                   // 00000000AD04: BF810000
